;; amdgpu-corpus repo=ROCm/rocFFT kind=compiled arch=gfx906 opt=O3
	.text
	.amdgcn_target "amdgcn-amd-amdhsa--gfx906"
	.amdhsa_code_object_version 6
	.protected	fft_rtc_back_len1911_factors_13_7_7_3_wgs_91_tpt_91_halfLds_dp_ip_CI_sbrr_dirReg ; -- Begin function fft_rtc_back_len1911_factors_13_7_7_3_wgs_91_tpt_91_halfLds_dp_ip_CI_sbrr_dirReg
	.globl	fft_rtc_back_len1911_factors_13_7_7_3_wgs_91_tpt_91_halfLds_dp_ip_CI_sbrr_dirReg
	.p2align	8
	.type	fft_rtc_back_len1911_factors_13_7_7_3_wgs_91_tpt_91_halfLds_dp_ip_CI_sbrr_dirReg,@function
fft_rtc_back_len1911_factors_13_7_7_3_wgs_91_tpt_91_halfLds_dp_ip_CI_sbrr_dirReg: ; @fft_rtc_back_len1911_factors_13_7_7_3_wgs_91_tpt_91_halfLds_dp_ip_CI_sbrr_dirReg
; %bb.0:
	s_load_dwordx2 s[14:15], s[4:5], 0x18
	s_load_dwordx4 s[8:11], s[4:5], 0x0
	s_load_dwordx2 s[12:13], s[4:5], 0x50
	v_mul_u32_u24_e32 v1, 0x2d1, v0
	v_add_u32_sdwa v5, s6, v1 dst_sel:DWORD dst_unused:UNUSED_PAD src0_sel:DWORD src1_sel:WORD_1
	s_waitcnt lgkmcnt(0)
	s_load_dwordx2 s[2:3], s[14:15], 0x0
	v_cmp_lt_u64_e64 s[0:1], s[10:11], 2
	v_mov_b32_e32 v3, 0
	v_mov_b32_e32 v1, 0
	;; [unrolled: 1-line block ×3, first 2 shown]
	s_and_b64 vcc, exec, s[0:1]
	v_mov_b32_e32 v2, 0
	s_cbranch_vccnz .LBB0_8
; %bb.1:
	s_load_dwordx2 s[0:1], s[4:5], 0x10
	s_add_u32 s6, s14, 8
	s_addc_u32 s7, s15, 0
	v_mov_b32_e32 v1, 0
	v_mov_b32_e32 v2, 0
	s_waitcnt lgkmcnt(0)
	s_add_u32 s16, s0, 8
	s_addc_u32 s17, s1, 0
	s_mov_b64 s[18:19], 1
.LBB0_2:                                ; =>This Inner Loop Header: Depth=1
	s_load_dwordx2 s[20:21], s[16:17], 0x0
                                        ; implicit-def: $vgpr7_vgpr8
	s_waitcnt lgkmcnt(0)
	v_or_b32_e32 v4, s21, v6
	v_cmp_ne_u64_e32 vcc, 0, v[3:4]
	s_and_saveexec_b64 s[0:1], vcc
	s_xor_b64 s[22:23], exec, s[0:1]
	s_cbranch_execz .LBB0_4
; %bb.3:                                ;   in Loop: Header=BB0_2 Depth=1
	v_cvt_f32_u32_e32 v4, s20
	v_cvt_f32_u32_e32 v7, s21
	s_sub_u32 s0, 0, s20
	s_subb_u32 s1, 0, s21
	v_mac_f32_e32 v4, 0x4f800000, v7
	v_rcp_f32_e32 v4, v4
	v_mul_f32_e32 v4, 0x5f7ffffc, v4
	v_mul_f32_e32 v7, 0x2f800000, v4
	v_trunc_f32_e32 v7, v7
	v_mac_f32_e32 v4, 0xcf800000, v7
	v_cvt_u32_f32_e32 v7, v7
	v_cvt_u32_f32_e32 v4, v4
	v_mul_lo_u32 v8, s0, v7
	v_mul_hi_u32 v9, s0, v4
	v_mul_lo_u32 v11, s1, v4
	v_mul_lo_u32 v10, s0, v4
	v_add_u32_e32 v8, v9, v8
	v_add_u32_e32 v8, v8, v11
	v_mul_hi_u32 v9, v4, v10
	v_mul_lo_u32 v11, v4, v8
	v_mul_hi_u32 v13, v4, v8
	v_mul_hi_u32 v12, v7, v10
	v_mul_lo_u32 v10, v7, v10
	v_mul_hi_u32 v14, v7, v8
	v_add_co_u32_e32 v9, vcc, v9, v11
	v_addc_co_u32_e32 v11, vcc, 0, v13, vcc
	v_mul_lo_u32 v8, v7, v8
	v_add_co_u32_e32 v9, vcc, v9, v10
	v_addc_co_u32_e32 v9, vcc, v11, v12, vcc
	v_addc_co_u32_e32 v10, vcc, 0, v14, vcc
	v_add_co_u32_e32 v8, vcc, v9, v8
	v_addc_co_u32_e32 v9, vcc, 0, v10, vcc
	v_add_co_u32_e32 v4, vcc, v4, v8
	v_addc_co_u32_e32 v7, vcc, v7, v9, vcc
	v_mul_lo_u32 v8, s0, v7
	v_mul_hi_u32 v9, s0, v4
	v_mul_lo_u32 v10, s1, v4
	v_mul_lo_u32 v11, s0, v4
	v_add_u32_e32 v8, v9, v8
	v_add_u32_e32 v8, v8, v10
	v_mul_lo_u32 v12, v4, v8
	v_mul_hi_u32 v13, v4, v11
	v_mul_hi_u32 v14, v4, v8
	;; [unrolled: 1-line block ×3, first 2 shown]
	v_mul_lo_u32 v11, v7, v11
	v_mul_hi_u32 v9, v7, v8
	v_add_co_u32_e32 v12, vcc, v13, v12
	v_addc_co_u32_e32 v13, vcc, 0, v14, vcc
	v_mul_lo_u32 v8, v7, v8
	v_add_co_u32_e32 v11, vcc, v12, v11
	v_addc_co_u32_e32 v10, vcc, v13, v10, vcc
	v_addc_co_u32_e32 v9, vcc, 0, v9, vcc
	v_add_co_u32_e32 v8, vcc, v10, v8
	v_addc_co_u32_e32 v9, vcc, 0, v9, vcc
	v_add_co_u32_e32 v4, vcc, v4, v8
	v_addc_co_u32_e32 v9, vcc, v7, v9, vcc
	v_mad_u64_u32 v[7:8], s[0:1], v5, v9, 0
	v_mul_hi_u32 v10, v5, v4
	v_add_co_u32_e32 v11, vcc, v10, v7
	v_addc_co_u32_e32 v12, vcc, 0, v8, vcc
	v_mad_u64_u32 v[7:8], s[0:1], v6, v4, 0
	v_mad_u64_u32 v[9:10], s[0:1], v6, v9, 0
	v_add_co_u32_e32 v4, vcc, v11, v7
	v_addc_co_u32_e32 v4, vcc, v12, v8, vcc
	v_addc_co_u32_e32 v7, vcc, 0, v10, vcc
	v_add_co_u32_e32 v4, vcc, v4, v9
	v_addc_co_u32_e32 v9, vcc, 0, v7, vcc
	v_mul_lo_u32 v10, s21, v4
	v_mul_lo_u32 v11, s20, v9
	v_mad_u64_u32 v[7:8], s[0:1], s20, v4, 0
	v_add3_u32 v8, v8, v11, v10
	v_sub_u32_e32 v10, v6, v8
	v_mov_b32_e32 v11, s21
	v_sub_co_u32_e32 v7, vcc, v5, v7
	v_subb_co_u32_e64 v10, s[0:1], v10, v11, vcc
	v_subrev_co_u32_e64 v11, s[0:1], s20, v7
	v_subbrev_co_u32_e64 v10, s[0:1], 0, v10, s[0:1]
	v_cmp_le_u32_e64 s[0:1], s21, v10
	v_cndmask_b32_e64 v12, 0, -1, s[0:1]
	v_cmp_le_u32_e64 s[0:1], s20, v11
	v_cndmask_b32_e64 v11, 0, -1, s[0:1]
	v_cmp_eq_u32_e64 s[0:1], s21, v10
	v_cndmask_b32_e64 v10, v12, v11, s[0:1]
	v_add_co_u32_e64 v11, s[0:1], 2, v4
	v_addc_co_u32_e64 v12, s[0:1], 0, v9, s[0:1]
	v_add_co_u32_e64 v13, s[0:1], 1, v4
	v_addc_co_u32_e64 v14, s[0:1], 0, v9, s[0:1]
	v_subb_co_u32_e32 v8, vcc, v6, v8, vcc
	v_cmp_ne_u32_e64 s[0:1], 0, v10
	v_cmp_le_u32_e32 vcc, s21, v8
	v_cndmask_b32_e64 v10, v14, v12, s[0:1]
	v_cndmask_b32_e64 v12, 0, -1, vcc
	v_cmp_le_u32_e32 vcc, s20, v7
	v_cndmask_b32_e64 v7, 0, -1, vcc
	v_cmp_eq_u32_e32 vcc, s21, v8
	v_cndmask_b32_e32 v7, v12, v7, vcc
	v_cmp_ne_u32_e32 vcc, 0, v7
	v_cndmask_b32_e64 v7, v13, v11, s[0:1]
	v_cndmask_b32_e32 v8, v9, v10, vcc
	v_cndmask_b32_e32 v7, v4, v7, vcc
.LBB0_4:                                ;   in Loop: Header=BB0_2 Depth=1
	s_andn2_saveexec_b64 s[0:1], s[22:23]
	s_cbranch_execz .LBB0_6
; %bb.5:                                ;   in Loop: Header=BB0_2 Depth=1
	v_cvt_f32_u32_e32 v4, s20
	s_sub_i32 s22, 0, s20
	v_rcp_iflag_f32_e32 v4, v4
	v_mul_f32_e32 v4, 0x4f7ffffe, v4
	v_cvt_u32_f32_e32 v4, v4
	v_mul_lo_u32 v7, s22, v4
	v_mul_hi_u32 v7, v4, v7
	v_add_u32_e32 v4, v4, v7
	v_mul_hi_u32 v4, v5, v4
	v_mul_lo_u32 v7, v4, s20
	v_add_u32_e32 v8, 1, v4
	v_sub_u32_e32 v7, v5, v7
	v_subrev_u32_e32 v9, s20, v7
	v_cmp_le_u32_e32 vcc, s20, v7
	v_cndmask_b32_e32 v7, v7, v9, vcc
	v_cndmask_b32_e32 v4, v4, v8, vcc
	v_add_u32_e32 v8, 1, v4
	v_cmp_le_u32_e32 vcc, s20, v7
	v_cndmask_b32_e32 v7, v4, v8, vcc
	v_mov_b32_e32 v8, v3
.LBB0_6:                                ;   in Loop: Header=BB0_2 Depth=1
	s_or_b64 exec, exec, s[0:1]
	v_mul_lo_u32 v4, v8, s20
	v_mul_lo_u32 v11, v7, s21
	v_mad_u64_u32 v[9:10], s[0:1], v7, s20, 0
	s_load_dwordx2 s[0:1], s[6:7], 0x0
	s_add_u32 s18, s18, 1
	v_add3_u32 v4, v10, v11, v4
	v_sub_co_u32_e32 v5, vcc, v5, v9
	v_subb_co_u32_e32 v4, vcc, v6, v4, vcc
	s_waitcnt lgkmcnt(0)
	v_mul_lo_u32 v4, s0, v4
	v_mul_lo_u32 v6, s1, v5
	v_mad_u64_u32 v[1:2], s[0:1], s0, v5, v[1:2]
	s_addc_u32 s19, s19, 0
	s_add_u32 s6, s6, 8
	v_add3_u32 v2, v6, v2, v4
	v_mov_b32_e32 v4, s10
	v_mov_b32_e32 v5, s11
	s_addc_u32 s7, s7, 0
	v_cmp_ge_u64_e32 vcc, s[18:19], v[4:5]
	s_add_u32 s16, s16, 8
	s_addc_u32 s17, s17, 0
	s_cbranch_vccnz .LBB0_9
; %bb.7:                                ;   in Loop: Header=BB0_2 Depth=1
	v_mov_b32_e32 v5, v7
	v_mov_b32_e32 v6, v8
	s_branch .LBB0_2
.LBB0_8:
	v_mov_b32_e32 v8, v6
	v_mov_b32_e32 v7, v5
.LBB0_9:
	s_lshl_b64 s[0:1], s[10:11], 3
	s_add_u32 s0, s14, s0
	s_addc_u32 s1, s15, s1
	s_load_dwordx2 s[6:7], s[0:1], 0x0
	s_load_dwordx2 s[10:11], s[4:5], 0x20
                                        ; implicit-def: $vgpr70_vgpr71
                                        ; implicit-def: $vgpr66_vgpr67
                                        ; implicit-def: $vgpr58_vgpr59
                                        ; implicit-def: $vgpr34_vgpr35
                                        ; implicit-def: $vgpr26_vgpr27
                                        ; implicit-def: $vgpr10_vgpr11
                                        ; implicit-def: $vgpr18_vgpr19
                                        ; implicit-def: $vgpr22_vgpr23
                                        ; implicit-def: $vgpr30_vgpr31
                                        ; implicit-def: $vgpr38_vgpr39
                                        ; implicit-def: $vgpr14_vgpr15
                                        ; implicit-def: $vgpr98_vgpr99
                                        ; implicit-def: $vgpr94_vgpr95
                                        ; implicit-def: $vgpr102_vgpr103
                                        ; implicit-def: $vgpr82_vgpr83
                                        ; implicit-def: $vgpr74_vgpr75
                                        ; implicit-def: $vgpr42_vgpr43
                                        ; implicit-def: $vgpr46_vgpr47
                                        ; implicit-def: $vgpr50_vgpr51
                                        ; implicit-def: $vgpr62_vgpr63
                                        ; implicit-def: $vgpr78_vgpr79
                                        ; implicit-def: $vgpr86_vgpr87
                                        ; implicit-def: $vgpr90_vgpr91
                                        ; implicit-def: $vgpr54_vgpr55
	s_waitcnt lgkmcnt(0)
	v_mad_u64_u32 v[1:2], s[0:1], s6, v7, v[1:2]
	v_mul_lo_u32 v3, s6, v8
	v_mul_lo_u32 v4, s7, v7
	s_mov_b32 s0, 0x2d02d03
	v_mul_hi_u32 v5, v0, s0
	v_cmp_gt_u64_e32 vcc, s[10:11], v[7:8]
	v_add3_u32 v2, v4, v2, v3
	v_lshlrev_b64 v[104:105], 4, v[1:2]
	v_mul_u32_u24_e32 v3, 0x5b, v5
	v_sub_u32_e32 v106, v0, v3
                                        ; implicit-def: $vgpr6_vgpr7
                                        ; implicit-def: $vgpr2_vgpr3
	s_and_saveexec_b64 s[4:5], vcc
	s_cbranch_execz .LBB0_13
; %bb.10:
	v_mad_u64_u32 v[0:1], s[0:1], s2, v106, 0
	v_add_u32_e32 v5, 0x93, v106
	v_mov_b32_e32 v4, s13
	v_mad_u64_u32 v[1:2], s[0:1], s3, v106, v[1:2]
	v_mad_u64_u32 v[2:3], s[0:1], s2, v5, 0
	v_add_co_u32_e64 v70, s[0:1], s12, v104
	v_addc_co_u32_e64 v71, s[0:1], v4, v105, s[0:1]
	v_lshlrev_b64 v[0:1], 4, v[0:1]
	v_mad_u64_u32 v[3:4], s[0:1], s3, v5, v[3:4]
	v_add_co_u32_e64 v0, s[0:1], v70, v0
	v_add_u32_e32 v6, 0x126, v106
	v_addc_co_u32_e64 v1, s[0:1], v71, v1, s[0:1]
	v_mad_u64_u32 v[4:5], s[0:1], s2, v6, 0
	v_lshlrev_b64 v[2:3], 4, v[2:3]
	v_add_u32_e32 v8, 0x1b9, v106
	v_add_co_u32_e64 v2, s[0:1], v70, v2
	v_addc_co_u32_e64 v3, s[0:1], v71, v3, s[0:1]
	v_mad_u64_u32 v[5:6], s[0:1], s3, v6, v[5:6]
	v_mad_u64_u32 v[6:7], s[0:1], s2, v8, 0
	global_load_dwordx4 v[52:55], v[0:1], off
	global_load_dwordx4 v[88:91], v[2:3], off
	v_lshlrev_b64 v[0:1], 4, v[4:5]
	v_mov_b32_e32 v2, v7
	v_mad_u64_u32 v[2:3], s[0:1], s3, v8, v[2:3]
	v_add_co_u32_e64 v0, s[0:1], v70, v0
	v_mov_b32_e32 v7, v2
	v_lshlrev_b64 v[2:3], 4, v[6:7]
	v_add_u32_e32 v6, 0x24c, v106
	v_addc_co_u32_e64 v1, s[0:1], v71, v1, s[0:1]
	v_mad_u64_u32 v[4:5], s[0:1], s2, v6, 0
	v_add_co_u32_e64 v2, s[0:1], v70, v2
	v_addc_co_u32_e64 v3, s[0:1], v71, v3, s[0:1]
	v_mad_u64_u32 v[5:6], s[0:1], s3, v6, v[5:6]
	v_add_u32_e32 v8, 0x2df, v106
	v_mad_u64_u32 v[6:7], s[0:1], s2, v8, 0
	global_load_dwordx4 v[84:87], v[0:1], off
	global_load_dwordx4 v[76:79], v[2:3], off
	v_lshlrev_b64 v[0:1], 4, v[4:5]
	v_mov_b32_e32 v2, v7
	v_mad_u64_u32 v[2:3], s[0:1], s3, v8, v[2:3]
	v_add_co_u32_e64 v0, s[0:1], v70, v0
	v_mov_b32_e32 v7, v2
	v_lshlrev_b64 v[2:3], 4, v[6:7]
	v_add_u32_e32 v6, 0x372, v106
	v_addc_co_u32_e64 v1, s[0:1], v71, v1, s[0:1]
	v_mad_u64_u32 v[4:5], s[0:1], s2, v6, 0
	v_add_co_u32_e64 v2, s[0:1], v70, v2
	v_addc_co_u32_e64 v3, s[0:1], v71, v3, s[0:1]
	v_mad_u64_u32 v[5:6], s[0:1], s3, v6, v[5:6]
	v_add_u32_e32 v8, 0x405, v106
	;; [unrolled: 16-line block ×4, first 2 shown]
	v_mad_u64_u32 v[6:7], s[0:1], s2, v8, 0
	global_load_dwordx4 v[72:75], v[0:1], off
	global_load_dwordx4 v[80:83], v[2:3], off
	v_lshlrev_b64 v[0:1], 4, v[4:5]
	v_mov_b32_e32 v2, v7
	v_mad_u64_u32 v[2:3], s[0:1], s3, v8, v[2:3]
	v_add_u32_e32 v8, 0x6e4, v106
	v_mad_u64_u32 v[3:4], s[0:1], s2, v8, 0
	v_add_co_u32_e64 v0, s[0:1], v70, v0
	v_mov_b32_e32 v7, v2
	v_mov_b32_e32 v2, v4
	v_addc_co_u32_e64 v1, s[0:1], v71, v1, s[0:1]
	v_lshlrev_b64 v[5:6], 4, v[6:7]
	v_mad_u64_u32 v[7:8], s[0:1], s3, v8, v[2:3]
	v_add_co_u32_e64 v4, s[0:1], v70, v5
	v_addc_co_u32_e64 v5, s[0:1], v71, v6, s[0:1]
	global_load_dwordx4 v[100:103], v[0:1], off
	global_load_dwordx4 v[92:95], v[4:5], off
	v_mov_b32_e32 v4, v7
	v_lshlrev_b64 v[0:1], 4, v[3:4]
                                        ; implicit-def: $vgpr12_vgpr13
                                        ; implicit-def: $vgpr36_vgpr37
                                        ; implicit-def: $vgpr28_vgpr29
                                        ; implicit-def: $vgpr20_vgpr21
                                        ; implicit-def: $vgpr16_vgpr17
                                        ; implicit-def: $vgpr8_vgpr9
                                        ; implicit-def: $vgpr4_vgpr5
                                        ; implicit-def: $vgpr24_vgpr25
                                        ; implicit-def: $vgpr32_vgpr33
                                        ; implicit-def: $vgpr56_vgpr57
                                        ; implicit-def: $vgpr64_vgpr65
                                        ; implicit-def: $vgpr68_vgpr69
	v_add_co_u32_e64 v0, s[0:1], v70, v0
	v_addc_co_u32_e64 v1, s[0:1], v71, v1, s[0:1]
	global_load_dwordx4 v[96:99], v[0:1], off
	v_cmp_gt_u32_e64 s[0:1], 56, v106
                                        ; implicit-def: $vgpr0_vgpr1
	s_and_saveexec_b64 s[6:7], s[0:1]
	s_cbranch_execz .LBB0_12
; %bb.11:
	v_add_u32_e32 v4, 0x5b, v106
	v_add_u32_e32 v6, 0xee, v106
	v_mad_u64_u32 v[0:1], s[0:1], s2, v4, 0
	v_mad_u64_u32 v[2:3], s[0:1], s2, v6, 0
	v_add_u32_e32 v8, 0x214, v106
	v_add_u32_e32 v24, 0x460, v106
	v_mad_u64_u32 v[4:5], s[0:1], s3, v4, v[1:2]
	v_add_u32_e32 v69, 0x6ac, v106
	v_mov_b32_e32 v1, v4
	v_lshlrev_b64 v[0:1], 4, v[0:1]
	v_mad_u64_u32 v[3:4], s[0:1], s3, v6, v[3:4]
	v_add_co_u32_e64 v0, s[0:1], v70, v0
	v_add_u32_e32 v6, 0x181, v106
	v_addc_co_u32_e64 v1, s[0:1], v71, v1, s[0:1]
	v_mad_u64_u32 v[4:5], s[0:1], s2, v6, 0
	v_lshlrev_b64 v[2:3], 4, v[2:3]
	v_add_co_u32_e64 v2, s[0:1], v70, v2
	v_addc_co_u32_e64 v3, s[0:1], v71, v3, s[0:1]
	v_mad_u64_u32 v[5:6], s[0:1], s3, v6, v[5:6]
	v_mad_u64_u32 v[6:7], s[0:1], s2, v8, 0
	global_load_dwordx4 v[12:15], v[0:1], off
	global_load_dwordx4 v[36:39], v[2:3], off
	v_lshlrev_b64 v[0:1], 4, v[4:5]
	v_mov_b32_e32 v2, v7
	v_mad_u64_u32 v[2:3], s[0:1], s3, v8, v[2:3]
	v_add_co_u32_e64 v0, s[0:1], v70, v0
	v_mov_b32_e32 v7, v2
	v_lshlrev_b64 v[2:3], 4, v[6:7]
	v_add_u32_e32 v6, 0x2a7, v106
	v_addc_co_u32_e64 v1, s[0:1], v71, v1, s[0:1]
	v_mad_u64_u32 v[4:5], s[0:1], s2, v6, 0
	v_add_co_u32_e64 v2, s[0:1], v70, v2
	v_addc_co_u32_e64 v3, s[0:1], v71, v3, s[0:1]
	v_mad_u64_u32 v[5:6], s[0:1], s3, v6, v[5:6]
	v_add_u32_e32 v8, 0x33a, v106
	v_mad_u64_u32 v[6:7], s[0:1], s2, v8, 0
	global_load_dwordx4 v[28:31], v[0:1], off
	global_load_dwordx4 v[20:23], v[2:3], off
	v_lshlrev_b64 v[0:1], 4, v[4:5]
	v_mov_b32_e32 v2, v7
	v_mad_u64_u32 v[2:3], s[0:1], s3, v8, v[2:3]
	v_add_co_u32_e64 v0, s[0:1], v70, v0
	v_mov_b32_e32 v7, v2
	v_lshlrev_b64 v[2:3], 4, v[6:7]
	v_add_u32_e32 v6, 0x3cd, v106
	v_addc_co_u32_e64 v1, s[0:1], v71, v1, s[0:1]
	v_mad_u64_u32 v[4:5], s[0:1], s2, v6, 0
	v_add_co_u32_e64 v2, s[0:1], v70, v2
	v_addc_co_u32_e64 v3, s[0:1], v71, v3, s[0:1]
	v_mad_u64_u32 v[5:6], s[0:1], s3, v6, v[5:6]
	v_mad_u64_u32 v[6:7], s[0:1], s2, v24, 0
	global_load_dwordx4 v[16:19], v[0:1], off
	global_load_dwordx4 v[8:11], v[2:3], off
	v_lshlrev_b64 v[0:1], 4, v[4:5]
	v_mov_b32_e32 v2, v7
	v_mad_u64_u32 v[2:3], s[0:1], s3, v24, v[2:3]
	v_add_co_u32_e64 v24, s[0:1], v70, v0
	v_mov_b32_e32 v7, v2
	v_add_u32_e32 v2, 0x4f3, v106
	v_addc_co_u32_e64 v25, s[0:1], v71, v1, s[0:1]
	v_mad_u64_u32 v[26:27], s[0:1], s2, v2, 0
	v_lshlrev_b64 v[0:1], 4, v[6:7]
	v_add_co_u32_e64 v32, s[0:1], v70, v0
	v_mov_b32_e32 v0, v27
	v_addc_co_u32_e64 v33, s[0:1], v71, v1, s[0:1]
	v_mad_u64_u32 v[34:35], s[0:1], s3, v2, v[0:1]
	v_add_u32_e32 v35, 0x586, v106
	v_mad_u64_u32 v[56:57], s[0:1], s2, v35, 0
	v_mov_b32_e32 v27, v34
	global_load_dwordx4 v[0:3], v[24:25], off
	global_load_dwordx4 v[4:7], v[32:33], off
	v_lshlrev_b64 v[24:25], 4, v[26:27]
	v_mov_b32_e32 v26, v57
	v_mad_u64_u32 v[26:27], s[0:1], s3, v35, v[26:27]
	v_add_co_u32_e64 v58, s[0:1], v70, v24
	v_mov_b32_e32 v57, v26
	v_add_u32_e32 v26, 0x619, v106
	v_addc_co_u32_e64 v59, s[0:1], v71, v25, s[0:1]
	v_lshlrev_b64 v[24:25], 4, v[56:57]
	v_mad_u64_u32 v[56:57], s[0:1], s2, v26, 0
	v_add_co_u32_e64 v64, s[0:1], v70, v24
	v_mov_b32_e32 v24, v57
	v_addc_co_u32_e64 v65, s[0:1], v71, v25, s[0:1]
	v_mad_u64_u32 v[66:67], s[0:1], s3, v26, v[24:25]
	v_mad_u64_u32 v[67:68], s[0:1], s2, v69, 0
	global_load_dwordx4 v[24:27], v[58:59], off
	global_load_dwordx4 v[32:35], v[64:65], off
	v_mov_b32_e32 v57, v66
	v_mov_b32_e32 v58, v68
	v_mad_u64_u32 v[58:59], s[0:1], s3, v69, v[58:59]
	v_add_u32_e32 v59, 0x73f, v106
	v_mad_u64_u32 v[107:108], s[0:1], s2, v59, 0
	v_lshlrev_b64 v[56:57], 4, v[56:57]
	v_mov_b32_e32 v68, v58
	v_add_co_u32_e64 v109, s[0:1], v70, v56
	v_mov_b32_e32 v58, v108
	v_addc_co_u32_e64 v110, s[0:1], v71, v57, s[0:1]
	v_lshlrev_b64 v[56:57], 4, v[67:68]
	v_mad_u64_u32 v[68:69], s[0:1], s3, v59, v[58:59]
	v_add_co_u32_e64 v111, s[0:1], v70, v56
	v_mov_b32_e32 v108, v68
	v_lshlrev_b64 v[68:69], 4, v[107:108]
	v_addc_co_u32_e64 v112, s[0:1], v71, v57, s[0:1]
	v_add_co_u32_e64 v68, s[0:1], v70, v68
	v_addc_co_u32_e64 v69, s[0:1], v71, v69, s[0:1]
	global_load_dwordx4 v[56:59], v[109:110], off
	global_load_dwordx4 v[64:67], v[111:112], off
	s_nop 0
	global_load_dwordx4 v[68:71], v[68:69], off
.LBB0_12:
	s_or_b64 exec, exec, s[6:7]
.LBB0_13:
	s_or_b64 exec, exec, s[4:5]
	s_waitcnt vmcnt(11)
	v_add_f64 v[107:108], v[88:89], v[52:53]
	s_waitcnt vmcnt(0)
	v_add_f64 v[111:112], v[90:91], -v[98:99]
	s_mov_b32 s38, 0x4267c47c
	s_mov_b32 s22, 0x42a4c3d2
	;; [unrolled: 1-line block ×4, first 2 shown]
	v_add_f64 v[109:110], v[96:97], v[88:89]
	v_add_f64 v[115:116], v[86:87], -v[94:95]
	v_add_f64 v[107:108], v[84:85], v[107:108]
	v_mul_f64 v[117:118], v[111:112], s[38:39]
	v_mul_f64 v[119:120], v[111:112], s[22:23]
	s_mov_b32 s10, 0xe00740e9
	s_mov_b32 s4, 0x1ea71119
	;; [unrolled: 1-line block ×5, first 2 shown]
	v_add_f64 v[107:108], v[76:77], v[107:108]
	s_mov_b32 s28, 0x4bc48dbf
	s_mov_b32 s11, 0x3fec55a7
	;; [unrolled: 1-line block ×7, first 2 shown]
	v_add_f64 v[107:108], v[60:61], v[107:108]
	v_add_f64 v[113:114], v[92:93], v[84:85]
	v_mul_f64 v[121:122], v[111:112], s[30:31]
	v_mul_f64 v[123:124], v[111:112], s[16:17]
	;; [unrolled: 1-line block ×6, first 2 shown]
	v_add_f64 v[107:108], v[48:49], v[107:108]
	v_fma_f64 v[137:138], v[109:110], s[10:11], v[117:118]
	v_fma_f64 v[117:118], v[109:110], s[10:11], -v[117:118]
	v_fma_f64 v[139:140], v[109:110], s[4:5], v[119:120]
	v_fma_f64 v[119:120], v[109:110], s[4:5], -v[119:120]
	s_mov_b32 s6, 0xebaa3ed8
	s_mov_b32 s14, 0xb2365da1
	;; [unrolled: 1-line block ×3, first 2 shown]
	v_add_f64 v[107:108], v[44:45], v[107:108]
	s_mov_b32 s26, 0x93053d00
	s_mov_b32 s7, 0x3fbedb7d
	;; [unrolled: 1-line block ×7, first 2 shown]
	v_add_f64 v[107:108], v[40:41], v[107:108]
	s_mov_b32 s36, s20
	s_mov_b32 s24, s30
	v_mul_f64 v[131:132], v[115:116], s[28:29]
	v_mul_f64 v[133:134], v[115:116], s[36:37]
	;; [unrolled: 1-line block ×3, first 2 shown]
	v_fma_f64 v[141:142], v[109:110], s[6:7], v[121:122]
	v_fma_f64 v[121:122], v[109:110], s[6:7], -v[121:122]
	v_add_f64 v[107:108], v[72:73], v[107:108]
	v_fma_f64 v[143:144], v[109:110], s[14:15], v[123:124]
	v_fma_f64 v[123:124], v[109:110], s[14:15], -v[123:124]
	v_fma_f64 v[145:146], v[109:110], s[18:19], v[125:126]
	v_fma_f64 v[125:126], v[109:110], s[18:19], -v[125:126]
	;; [unrolled: 2-line block ×3, first 2 shown]
	v_fma_f64 v[111:112], v[113:114], s[4:5], v[127:128]
	v_add_f64 v[107:108], v[80:81], v[107:108]
	v_fma_f64 v[127:128], v[113:114], s[4:5], -v[127:128]
	v_fma_f64 v[149:150], v[113:114], s[14:15], v[129:130]
	v_fma_f64 v[129:130], v[113:114], s[14:15], -v[129:130]
	v_add_f64 v[137:138], v[52:53], v[137:138]
	v_add_f64 v[117:118], v[52:53], v[117:118]
	;; [unrolled: 1-line block ×5, first 2 shown]
	s_mov_b32 s35, 0x3fddbe06
	s_mov_b32 s34, s38
	v_fma_f64 v[151:152], v[113:114], s[26:27], v[131:132]
	v_add_f64 v[141:142], v[52:53], v[141:142]
	v_add_f64 v[121:122], v[52:53], v[121:122]
	;; [unrolled: 1-line block ×14, first 2 shown]
	v_fma_f64 v[107:108], v[113:114], s[26:27], -v[131:132]
	v_fma_f64 v[131:132], v[113:114], s[18:19], v[133:134]
	v_fma_f64 v[133:134], v[113:114], s[18:19], -v[133:134]
	v_fma_f64 v[137:138], v[113:114], s[6:7], v[135:136]
	v_fma_f64 v[135:136], v[113:114], s[6:7], -v[135:136]
	v_add_f64 v[139:140], v[78:79], -v[102:103]
	v_mul_f64 v[115:116], v[115:116], s[34:35]
	s_mov_b32 s45, 0x3fedeba7
	s_mov_b32 s44, s16
	v_add_f64 v[127:128], v[151:152], v[141:142]
	v_add_f64 v[107:108], v[107:108], v[121:122]
	;; [unrolled: 1-line block ×6, first 2 shown]
	v_mul_f64 v[137:138], v[139:140], s[30:31]
	v_add_f64 v[125:126], v[135:136], v[125:126]
	v_fma_f64 v[135:136], v[113:114], s[10:11], v[115:116]
	v_fma_f64 v[113:114], v[113:114], s[10:11], -v[115:116]
	v_mul_f64 v[115:116], v[139:140], s[28:29]
	v_mul_f64 v[141:142], v[139:140], s[44:45]
	s_mov_b32 s43, 0x3fcea1e5
	s_mov_b32 s42, s28
	v_fma_f64 v[143:144], v[133:134], s[6:7], v[137:138]
	v_fma_f64 v[137:138], v[133:134], s[6:7], -v[137:138]
	v_add_f64 v[135:136], v[135:136], v[147:148]
	v_add_f64 v[52:53], v[113:114], v[52:53]
	v_mul_f64 v[113:114], v[139:140], s[34:35]
	v_fma_f64 v[145:146], v[133:134], s[26:27], v[115:116]
	v_fma_f64 v[115:116], v[133:134], s[26:27], -v[115:116]
	v_fma_f64 v[147:148], v[133:134], s[14:15], v[141:142]
	v_add_f64 v[109:110], v[143:144], v[109:110]
	v_add_f64 v[111:112], v[137:138], v[111:112]
	v_fma_f64 v[137:138], v[133:134], s[14:15], -v[141:142]
	v_mul_f64 v[141:142], v[139:140], s[22:23]
	v_fma_f64 v[143:144], v[133:134], s[10:11], v[113:114]
	v_fma_f64 v[113:114], v[133:134], s[10:11], -v[113:114]
	v_add_f64 v[115:116], v[115:116], v[119:120]
	v_add_f64 v[119:120], v[147:148], v[127:128]
	v_add_f64 v[127:128], v[62:63], -v[82:83]
	v_mul_f64 v[139:140], v[139:140], s[20:21]
	v_add_f64 v[117:118], v[145:146], v[117:118]
	v_add_f64 v[107:108], v[137:138], v[107:108]
	v_fma_f64 v[137:138], v[133:134], s[4:5], v[141:142]
	v_add_f64 v[121:122], v[143:144], v[121:122]
	v_fma_f64 v[141:142], v[133:134], s[4:5], -v[141:142]
	v_add_f64 v[143:144], v[80:81], v[60:61]
	v_mul_f64 v[145:146], v[127:128], s[16:17]
	v_add_f64 v[113:114], v[113:114], v[123:124]
	v_mul_f64 v[123:124], v[127:128], s[36:37]
	v_fma_f64 v[147:148], v[133:134], s[18:19], v[139:140]
	v_add_f64 v[131:132], v[137:138], v[131:132]
	v_mul_f64 v[137:138], v[127:128], s[34:35]
	v_add_f64 v[125:126], v[141:142], v[125:126]
	v_fma_f64 v[133:134], v[133:134], s[18:19], -v[139:140]
	v_fma_f64 v[139:140], v[143:144], s[14:15], v[145:146]
	v_fma_f64 v[141:142], v[143:144], s[14:15], -v[145:146]
	v_fma_f64 v[145:146], v[143:144], s[18:19], v[123:124]
	v_fma_f64 v[123:124], v[143:144], s[18:19], -v[123:124]
	v_add_f64 v[135:136], v[147:148], v[135:136]
	v_mul_f64 v[147:148], v[127:128], s[30:31]
	v_fma_f64 v[149:150], v[143:144], s[10:11], v[137:138]
	v_add_f64 v[52:53], v[133:134], v[52:53]
	s_mov_b32 s41, 0x3fea55e2
	v_add_f64 v[111:112], v[141:142], v[111:112]
	v_add_f64 v[141:142], v[50:51], -v[74:75]
	v_add_f64 v[115:116], v[123:124], v[115:116]
	v_fma_f64 v[123:124], v[143:144], s[10:11], -v[137:138]
	v_fma_f64 v[133:134], v[143:144], s[6:7], v[147:148]
	v_mul_f64 v[137:138], v[127:128], s[42:43]
	s_mov_b32 s40, s22
	v_add_f64 v[109:110], v[139:140], v[109:110]
	v_fma_f64 v[139:140], v[143:144], s[6:7], -v[147:148]
	v_mul_f64 v[127:128], v[127:128], s[40:41]
	v_add_f64 v[117:118], v[145:146], v[117:118]
	v_add_f64 v[107:108], v[123:124], v[107:108]
	;; [unrolled: 1-line block ×3, first 2 shown]
	v_fma_f64 v[123:124], v[143:144], s[26:27], v[137:138]
	v_add_f64 v[133:134], v[72:73], v[48:49]
	v_mul_f64 v[145:146], v[141:142], s[20:21]
	v_add_f64 v[113:114], v[139:140], v[113:114]
	v_fma_f64 v[137:138], v[143:144], s[26:27], -v[137:138]
	v_fma_f64 v[139:140], v[143:144], s[4:5], v[127:128]
	v_mul_f64 v[147:148], v[141:142], s[24:25]
	v_fma_f64 v[127:128], v[143:144], s[4:5], -v[127:128]
	v_add_f64 v[123:124], v[123:124], v[131:132]
	v_mul_f64 v[131:132], v[141:142], s[22:23]
	v_fma_f64 v[143:144], v[133:134], s[18:19], v[145:146]
	v_add_f64 v[119:120], v[149:150], v[119:120]
	v_add_f64 v[125:126], v[137:138], v[125:126]
	;; [unrolled: 1-line block ×3, first 2 shown]
	v_fma_f64 v[137:138], v[133:134], s[6:7], v[147:148]
	v_add_f64 v[52:53], v[127:128], v[52:53]
	v_fma_f64 v[127:128], v[133:134], s[6:7], -v[147:148]
	v_fma_f64 v[139:140], v[133:134], s[4:5], v[131:132]
	v_add_f64 v[109:110], v[143:144], v[109:110]
	v_fma_f64 v[131:132], v[133:134], s[4:5], -v[131:132]
	v_mul_f64 v[143:144], v[141:142], s[42:43]
	v_fma_f64 v[145:146], v[133:134], s[18:19], -v[145:146]
	v_add_f64 v[117:118], v[137:138], v[117:118]
	v_mul_f64 v[137:138], v[141:142], s[34:35]
	v_add_f64 v[115:116], v[127:128], v[115:116]
	v_add_f64 v[127:128], v[46:47], -v[42:43]
	v_add_f64 v[119:120], v[139:140], v[119:120]
	v_add_f64 v[107:108], v[131:132], v[107:108]
	v_fma_f64 v[131:132], v[133:134], s[26:27], v[143:144]
	v_add_f64 v[111:112], v[145:146], v[111:112]
	v_mul_f64 v[139:140], v[141:142], s[16:17]
	v_fma_f64 v[141:142], v[133:134], s[26:27], -v[143:144]
	v_fma_f64 v[143:144], v[133:134], s[10:11], v[137:138]
	v_fma_f64 v[137:138], v[133:134], s[10:11], -v[137:138]
	v_add_f64 v[145:146], v[40:41], v[44:45]
	v_mul_f64 v[147:148], v[127:128], s[28:29]
	v_add_f64 v[121:122], v[131:132], v[121:122]
	v_mul_f64 v[131:132], v[127:128], s[34:35]
	v_fma_f64 v[149:150], v[133:134], s[14:15], v[139:140]
	v_fma_f64 v[133:134], v[133:134], s[14:15], -v[139:140]
	v_add_f64 v[113:114], v[141:142], v[113:114]
	v_add_f64 v[125:126], v[137:138], v[125:126]
	v_mul_f64 v[141:142], v[127:128], s[20:21]
	v_fma_f64 v[137:138], v[145:146], s[26:27], v[147:148]
	v_add_f64 v[123:124], v[143:144], v[123:124]
	v_fma_f64 v[139:140], v[145:146], s[10:11], v[131:132]
	v_fma_f64 v[131:132], v[145:146], s[10:11], -v[131:132]
	v_add_f64 v[52:53], v[133:134], v[52:53]
	v_fma_f64 v[133:134], v[145:146], s[26:27], -v[147:148]
	v_mul_f64 v[143:144], v[127:128], s[40:41]
	v_add_f64 v[135:136], v[149:150], v[135:136]
	v_add_f64 v[109:110], v[137:138], v[109:110]
	v_mul_f64 v[137:138], v[127:128], s[16:17]
	v_mul_f64 v[127:128], v[127:128], s[24:25]
	v_add_f64 v[115:116], v[131:132], v[115:116]
	v_fma_f64 v[131:132], v[145:146], s[18:19], v[141:142]
	v_add_f64 v[111:112], v[133:134], v[111:112]
	v_add_f64 v[117:118], v[139:140], v[117:118]
	v_fma_f64 v[133:134], v[145:146], s[4:5], v[143:144]
	v_fma_f64 v[139:140], v[145:146], s[4:5], -v[143:144]
	v_fma_f64 v[143:144], v[145:146], s[14:15], v[137:138]
	v_fma_f64 v[147:148], v[145:146], s[6:7], v[127:128]
	v_fma_f64 v[127:128], v[145:146], s[6:7], -v[127:128]
	v_fma_f64 v[137:138], v[145:146], s[14:15], -v[137:138]
	;; [unrolled: 1-line block ×3, first 2 shown]
	v_add_f64 v[119:120], v[131:132], v[119:120]
	v_add_f64 v[121:122], v[133:134], v[121:122]
	;; [unrolled: 1-line block ×8, first 2 shown]
	s_movk_i32 s0, 0x68
	v_mad_u32_u24 v107, v106, s0, 0
	v_cmp_gt_u32_e64 s[0:1], 56, v106
	ds_write2_b64 v107, v[129:130], v[109:110] offset1:1
	ds_write2_b64 v107, v[117:118], v[119:120] offset0:2 offset1:3
	ds_write2_b64 v107, v[121:122], v[123:124] offset0:4 offset1:5
	;; [unrolled: 1-line block ×5, first 2 shown]
	ds_write_b64 v107, v[111:112] offset:96
	s_and_saveexec_b64 s[46:47], s[0:1]
	s_cbranch_execz .LBB0_15
; %bb.14:
	v_add_f64 v[52:53], v[68:69], v[36:37]
	v_add_f64 v[118:119], v[64:65], v[28:29]
	v_add_f64 v[120:121], v[38:39], -v[70:71]
	v_add_f64 v[126:127], v[56:57], v[20:21]
	v_add_f64 v[130:131], v[30:31], -v[66:67]
	v_add_f64 v[116:117], v[32:33], v[16:17]
	v_add_f64 v[128:129], v[22:23], -v[58:59]
	v_add_f64 v[124:125], v[18:19], -v[34:35]
	v_mul_f64 v[122:123], v[52:53], s[26:27]
	v_mul_f64 v[136:137], v[118:119], s[10:11]
	;; [unrolled: 1-line block ×4, first 2 shown]
	v_add_f64 v[112:113], v[24:25], v[8:9]
	v_mul_f64 v[140:141], v[116:117], s[4:5]
	v_mul_f64 v[150:151], v[118:119], s[6:7]
	v_mul_f64 v[162:163], v[52:53], s[14:15]
	v_fma_f64 v[138:139], v[120:121], s[42:43], v[122:123]
	v_fma_f64 v[152:153], v[130:131], s[38:39], v[136:137]
	;; [unrolled: 1-line block ×6, first 2 shown]
	v_add_f64 v[108:109], v[4:5], v[0:1]
	v_add_f64 v[114:115], v[10:11], -v[26:27]
	v_add_f64 v[138:139], v[12:13], v[138:139]
	v_mul_f64 v[134:135], v[112:113], s[14:15]
	v_add_f64 v[122:123], v[12:13], v[122:123]
	v_mul_f64 v[148:149], v[126:127], s[4:5]
	v_mul_f64 v[160:161], v[118:119], s[18:19]
	v_fma_f64 v[142:143], v[128:129], s[20:21], v[142:143]
	v_fma_f64 v[170:171], v[130:131], s[30:31], v[150:151]
	;; [unrolled: 1-line block ×3, first 2 shown]
	v_add_f64 v[138:139], v[152:153], v[138:139]
	v_fma_f64 v[150:151], v[130:131], s[24:25], v[150:151]
	v_add_f64 v[122:123], v[136:137], v[122:123]
	v_add_f64 v[110:111], v[2:3], -v[6:7]
	v_mul_f64 v[132:133], v[108:109], s[6:7]
	v_mul_f64 v[146:147], v[116:117], s[26:27]
	;; [unrolled: 1-line block ×3, first 2 shown]
	v_fma_f64 v[166:167], v[114:115], s[44:45], v[134:135]
	v_add_f64 v[138:139], v[164:165], v[138:139]
	v_fma_f64 v[164:165], v[120:121], s[36:37], v[154:155]
	v_fma_f64 v[154:155], v[120:121], s[20:21], v[154:155]
	;; [unrolled: 1-line block ×3, first 2 shown]
	v_add_f64 v[172:173], v[12:13], v[172:173]
	v_add_f64 v[122:123], v[142:143], v[122:123]
	v_fma_f64 v[142:143], v[128:129], s[22:23], v[148:149]
	v_mul_f64 v[144:145], v[112:113], s[10:11]
	v_add_f64 v[136:137], v[168:169], v[138:139]
	v_add_f64 v[138:139], v[12:13], v[164:165]
	;; [unrolled: 1-line block ×3, first 2 shown]
	v_fma_f64 v[164:165], v[128:129], s[40:41], v[148:149]
	v_fma_f64 v[168:169], v[130:131], s[20:21], v[160:161]
	v_mul_f64 v[156:157], v[116:117], s[6:7]
	v_fma_f64 v[152:153], v[110:111], s[30:31], v[132:133]
	v_add_f64 v[122:123], v[140:141], v[122:123]
	v_add_f64 v[136:137], v[166:167], v[136:137]
	;; [unrolled: 1-line block ×4, first 2 shown]
	v_fma_f64 v[150:151], v[124:125], s[28:29], v[146:147]
	v_fma_f64 v[154:155], v[128:129], s[38:39], v[158:159]
	v_add_f64 v[166:167], v[168:169], v[172:173]
	v_fma_f64 v[140:141], v[124:125], s[42:43], v[146:147]
	v_fma_f64 v[134:135], v[114:115], s[16:17], v[134:135]
	v_add_f64 v[136:137], v[152:153], v[136:137]
	v_add_f64 v[138:139], v[164:165], v[138:139]
	;; [unrolled: 1-line block ×3, first 2 shown]
	v_mul_f64 v[146:147], v[108:109], s[14:15]
	v_mul_f64 v[148:149], v[112:113], s[26:27]
	v_fma_f64 v[152:153], v[124:125], s[24:25], v[156:157]
	v_add_f64 v[154:155], v[154:155], v[166:167]
	v_fma_f64 v[164:165], v[114:115], s[38:39], v[144:145]
	v_fma_f64 v[144:145], v[114:115], s[34:35], v[144:145]
	v_add_f64 v[138:139], v[150:151], v[138:139]
	v_add_f64 v[140:141], v[140:141], v[142:143]
	v_fma_f64 v[132:133], v[110:111], s[24:25], v[132:133]
	v_add_f64 v[122:123], v[134:135], v[122:123]
	v_mul_f64 v[134:135], v[108:109], s[4:5]
	v_fma_f64 v[142:143], v[114:115], s[28:29], v[148:149]
	v_add_f64 v[150:151], v[152:153], v[154:155]
	v_fma_f64 v[152:153], v[110:111], s[44:45], v[146:147]
	v_add_f64 v[138:139], v[164:165], v[138:139]
	;; [unrolled: 2-line block ×3, first 2 shown]
	v_mul_f64 v[144:145], v[52:53], s[6:7]
	v_fma_f64 v[154:155], v[110:111], s[22:23], v[134:135]
	v_fma_f64 v[162:163], v[120:121], s[16:17], v[162:163]
	v_add_f64 v[142:143], v[142:143], v[150:151]
	v_add_f64 v[122:123], v[132:133], v[122:123]
	;; [unrolled: 1-line block ×3, first 2 shown]
	v_mul_f64 v[138:139], v[118:119], s[26:27]
	v_add_f64 v[140:141], v[146:147], v[140:141]
	v_fma_f64 v[146:147], v[120:121], s[24:25], v[144:145]
	v_fma_f64 v[150:151], v[130:131], s[36:37], v[160:161]
	v_add_f64 v[152:153], v[12:13], v[162:163]
	v_add_f64 v[142:143], v[154:155], v[142:143]
	v_mul_f64 v[154:155], v[126:127], s[14:15]
	v_fma_f64 v[144:145], v[120:121], s[30:31], v[144:145]
	v_fma_f64 v[160:161], v[130:131], s[42:43], v[138:139]
	;; [unrolled: 1-line block ×3, first 2 shown]
	v_add_f64 v[146:147], v[12:13], v[146:147]
	v_fma_f64 v[138:139], v[130:131], s[28:29], v[138:139]
	v_add_f64 v[150:151], v[150:151], v[152:153]
	v_fma_f64 v[152:153], v[124:125], s[30:31], v[156:157]
	v_fma_f64 v[162:163], v[128:129], s[16:17], v[154:155]
	v_add_f64 v[144:145], v[12:13], v[144:145]
	v_mul_f64 v[156:157], v[116:117], s[10:11]
	v_fma_f64 v[148:149], v[114:115], s[42:43], v[148:149]
	v_add_f64 v[146:147], v[160:161], v[146:147]
	v_add_f64 v[160:161], v[36:37], v[12:13]
	;; [unrolled: 1-line block ×3, first 2 shown]
	v_mul_f64 v[158:159], v[112:113], s[4:5]
	v_fma_f64 v[154:155], v[128:129], s[44:45], v[154:155]
	v_add_f64 v[138:139], v[138:139], v[144:145]
	v_fma_f64 v[164:165], v[124:125], s[38:39], v[156:157]
	v_fma_f64 v[156:157], v[124:125], s[34:35], v[156:157]
	v_add_f64 v[144:145], v[162:163], v[146:147]
	v_add_f64 v[146:147], v[28:29], v[160:161]
	;; [unrolled: 1-line block ×3, first 2 shown]
	v_mul_f64 v[160:161], v[52:53], s[4:5]
	v_fma_f64 v[162:163], v[114:115], s[40:41], v[158:159]
	v_add_f64 v[138:139], v[154:155], v[138:139]
	v_mul_f64 v[52:53], v[52:53], s[10:11]
	v_fma_f64 v[158:159], v[114:115], s[22:23], v[158:159]
	v_add_f64 v[144:145], v[164:165], v[144:145]
	v_add_f64 v[146:147], v[20:21], v[146:147]
	;; [unrolled: 1-line block ×3, first 2 shown]
	v_mul_f64 v[150:151], v[118:119], s[14:15]
	v_fma_f64 v[154:155], v[120:121], s[40:41], v[160:161]
	v_add_f64 v[138:139], v[156:157], v[138:139]
	v_mul_f64 v[156:157], v[126:127], s[26:27]
	v_mul_f64 v[118:119], v[118:119], s[4:5]
	v_add_f64 v[144:145], v[162:163], v[144:145]
	v_add_f64 v[146:147], v[16:17], v[146:147]
	v_fma_f64 v[172:173], v[120:121], s[38:39], v[52:53]
	v_fma_f64 v[162:163], v[130:131], s[44:45], v[150:151]
	v_add_f64 v[154:155], v[12:13], v[154:155]
	v_fma_f64 v[160:161], v[120:121], s[22:23], v[160:161]
	v_fma_f64 v[168:169], v[128:129], s[42:43], v[156:157]
	;; [unrolled: 1-line block ×3, first 2 shown]
	v_mul_f64 v[126:127], v[126:127], s[6:7]
	v_add_f64 v[146:147], v[8:9], v[146:147]
	v_fma_f64 v[120:121], v[130:131], s[22:23], v[118:119]
	v_fma_f64 v[150:151], v[130:131], s[16:17], v[150:151]
	v_add_f64 v[154:155], v[162:163], v[154:155]
	v_add_f64 v[160:161], v[12:13], v[160:161]
	v_fma_f64 v[118:119], v[130:131], s[40:41], v[118:119]
	v_add_f64 v[138:139], v[158:159], v[138:139]
	v_mul_f64 v[158:159], v[116:117], s[18:19]
	v_add_f64 v[146:147], v[0:1], v[146:147]
	v_mul_f64 v[116:117], v[116:117], s[14:15]
	v_mul_f64 v[166:167], v[112:113], s[6:7]
	v_add_f64 v[154:155], v[168:169], v[154:155]
	v_add_f64 v[168:169], v[12:13], v[172:173]
	v_add_f64 v[12:13], v[12:13], v[52:53]
	v_fma_f64 v[52:53], v[128:129], s[30:31], v[126:127]
	v_add_f64 v[150:151], v[150:151], v[160:161]
	v_add_f64 v[146:147], v[4:5], v[146:147]
	v_fma_f64 v[126:127], v[128:129], s[24:25], v[126:127]
	v_mul_f64 v[112:113], v[112:113], s[18:19]
	v_fma_f64 v[174:175], v[124:125], s[20:21], v[158:159]
	v_add_f64 v[120:121], v[120:121], v[168:169]
	v_add_f64 v[12:13], v[118:119], v[12:13]
	v_fma_f64 v[118:119], v[124:125], s[16:17], v[116:117]
	v_fma_f64 v[116:117], v[124:125], s[44:45], v[116:117]
	v_add_f64 v[130:131], v[24:25], v[146:147]
	v_fma_f64 v[146:147], v[128:129], s[28:29], v[156:157]
	v_fma_f64 v[128:129], v[124:125], s[36:37], v[158:159]
	v_mul_f64 v[152:153], v[108:109], s[18:19]
	v_add_f64 v[52:53], v[52:53], v[120:121]
	v_add_f64 v[12:13], v[126:127], v[12:13]
	v_mul_f64 v[162:163], v[108:109], s[10:11]
	v_mul_f64 v[108:109], v[108:109], s[26:27]
	v_add_f64 v[120:121], v[32:33], v[130:131]
	v_add_f64 v[130:131], v[146:147], v[150:151]
	v_fma_f64 v[124:125], v[114:115], s[20:21], v[112:113]
	v_fma_f64 v[170:171], v[114:115], s[30:31], v[166:167]
	v_add_f64 v[52:53], v[118:119], v[52:53]
	v_fma_f64 v[112:113], v[114:115], s[36:37], v[112:113]
	v_add_f64 v[12:13], v[116:117], v[12:13]
	;; [unrolled: 2-line block ×4, first 2 shown]
	v_add_f64 v[128:129], v[174:175], v[154:155]
	v_fma_f64 v[114:115], v[110:111], s[28:29], v[108:109]
	v_add_f64 v[52:53], v[124:125], v[52:53]
	v_fma_f64 v[152:153], v[110:111], s[20:21], v[152:153]
	v_fma_f64 v[134:135], v[110:111], s[40:41], v[134:135]
	v_add_f64 v[116:117], v[64:65], v[118:119]
	v_fma_f64 v[118:119], v[110:111], s[34:35], v[162:163]
	v_add_f64 v[120:121], v[120:121], v[126:127]
	;; [unrolled: 2-line block ×4, first 2 shown]
	v_add_f64 v[52:53], v[114:115], v[52:53]
	v_add_f64 v[110:111], v[68:69], v[116:117]
	;; [unrolled: 1-line block ×8, first 2 shown]
	v_add_u32_e32 v108, 0x24f8, v107
	ds_write2_b64 v108, v[110:111], v[52:53] offset1:1
	v_add_u32_e32 v52, 0x2508, v107
	ds_write2_b64 v52, v[114:115], v[112:113] offset1:1
	;; [unrolled: 2-line block ×6, first 2 shown]
	ds_write_b64 v107, v[12:13] offset:9560
.LBB0_15:
	s_or_b64 exec, exec, s[46:47]
	v_add_f64 v[12:13], v[90:91], v[54:55]
	v_add_f64 v[52:53], v[88:89], -v[96:97]
	v_add_f64 v[88:89], v[98:99], v[90:91]
	v_add_f64 v[90:91], v[94:95], v[86:87]
	v_add_f64 v[84:85], v[84:85], -v[92:93]
	v_add_f64 v[76:77], v[76:77], -v[100:101]
	v_add_f64 v[92:93], v[102:103], v[78:79]
	v_add_f64 v[60:61], v[60:61], -v[80:81]
	v_add_f64 v[12:13], v[86:87], v[12:13]
	v_mul_f64 v[86:87], v[52:53], s[38:39]
	v_mul_f64 v[96:97], v[52:53], s[22:23]
	;; [unrolled: 1-line block ×7, first 2 shown]
	v_add_f64 v[12:13], v[78:79], v[12:13]
	v_mul_f64 v[114:115], v[84:85], s[16:17]
	v_fma_f64 v[128:129], v[88:89], s[10:11], -v[86:87]
	v_fma_f64 v[86:87], v[88:89], s[10:11], v[86:87]
	v_fma_f64 v[130:131], v[88:89], s[4:5], -v[96:97]
	v_fma_f64 v[96:97], v[88:89], s[4:5], v[96:97]
	v_mul_f64 v[78:79], v[84:85], s[28:29]
	v_mul_f64 v[116:117], v[84:85], s[36:37]
	v_add_f64 v[12:13], v[62:63], v[12:13]
	v_mul_f64 v[118:119], v[84:85], s[24:25]
	v_mul_f64 v[84:85], v[84:85], s[34:35]
	;; [unrolled: 1-line block ×4, first 2 shown]
	v_fma_f64 v[132:133], v[88:89], s[6:7], -v[100:101]
	v_fma_f64 v[100:101], v[88:89], s[6:7], v[100:101]
	v_fma_f64 v[134:135], v[88:89], s[14:15], -v[108:109]
	v_add_f64 v[12:13], v[50:51], v[12:13]
	v_fma_f64 v[108:109], v[88:89], s[14:15], v[108:109]
	v_fma_f64 v[136:137], v[88:89], s[18:19], -v[110:111]
	v_fma_f64 v[110:111], v[88:89], s[18:19], v[110:111]
	v_fma_f64 v[138:139], v[88:89], s[26:27], -v[52:53]
	;; [unrolled: 2-line block ×3, first 2 shown]
	v_fma_f64 v[112:113], v[90:91], s[4:5], v[112:113]
	v_add_f64 v[12:13], v[46:47], v[12:13]
	v_fma_f64 v[140:141], v[90:91], s[14:15], -v[114:115]
	v_add_f64 v[128:129], v[54:55], v[128:129]
	v_add_f64 v[86:87], v[54:55], v[86:87]
	;; [unrolled: 1-line block ×3, first 2 shown]
	v_fma_f64 v[114:115], v[90:91], s[14:15], v[114:115]
	v_add_f64 v[96:97], v[54:55], v[96:97]
	v_mul_f64 v[124:125], v[76:77], s[44:45]
	v_add_f64 v[12:13], v[42:43], v[12:13]
	v_mul_f64 v[126:127], v[76:77], s[34:35]
	v_fma_f64 v[142:143], v[90:91], s[26:27], -v[78:79]
	v_fma_f64 v[78:79], v[90:91], s[26:27], v[78:79]
	v_fma_f64 v[144:145], v[90:91], s[18:19], -v[116:117]
	v_fma_f64 v[116:117], v[90:91], s[18:19], v[116:117]
	v_fma_f64 v[146:147], v[90:91], s[6:7], -v[118:119]
	v_fma_f64 v[118:119], v[90:91], s[6:7], v[118:119]
	v_add_f64 v[12:13], v[74:75], v[12:13]
	v_fma_f64 v[148:149], v[90:91], s[10:11], -v[84:85]
	v_fma_f64 v[84:85], v[90:91], s[10:11], v[84:85]
	v_fma_f64 v[90:91], v[92:93], s[6:7], -v[120:121]
	v_fma_f64 v[120:121], v[92:93], s[6:7], v[120:121]
	v_fma_f64 v[150:151], v[92:93], s[26:27], -v[122:123]
	v_add_f64 v[132:133], v[54:55], v[132:133]
	v_add_f64 v[100:101], v[54:55], v[100:101]
	v_add_f64 v[12:13], v[82:83], v[12:13]
	v_add_f64 v[134:135], v[54:55], v[134:135]
	v_add_f64 v[108:109], v[54:55], v[108:109]
	v_add_f64 v[136:137], v[54:55], v[136:137]
	v_add_f64 v[110:111], v[54:55], v[110:111]
	v_add_f64 v[138:139], v[54:55], v[138:139]
	v_add_f64 v[52:53], v[54:55], v[52:53]
	v_add_f64 v[54:55], v[88:89], v[128:129]
	v_add_f64 v[12:13], v[102:103], v[12:13]
	v_add_f64 v[86:87], v[112:113], v[86:87]
	v_add_f64 v[88:89], v[140:141], v[130:131]
	v_fma_f64 v[122:123], v[92:93], s[26:27], v[122:123]
	v_add_f64 v[96:97], v[114:115], v[96:97]
	v_add_f64 v[78:79], v[78:79], v[100:101]
	v_add_f64 v[52:53], v[84:85], v[52:53]
	v_add_f64 v[100:101], v[144:145], v[134:135]
	v_add_f64 v[12:13], v[94:95], v[12:13]
	v_add_f64 v[94:95], v[116:117], v[108:109]
	v_add_f64 v[84:85], v[120:121], v[86:87]
	v_add_f64 v[86:87], v[150:151], v[88:89]
	v_mul_f64 v[88:89], v[76:77], s[22:23]
	v_add_f64 v[54:55], v[90:91], v[54:55]
	v_add_f64 v[90:91], v[122:123], v[96:97]
	v_fma_f64 v[96:97], v[92:93], s[10:11], -v[126:127]
	v_add_f64 v[114:115], v[98:99], v[12:13]
	v_fma_f64 v[12:13], v[92:93], s[14:15], v[124:125]
	v_fma_f64 v[98:99], v[92:93], s[10:11], v[126:127]
	v_mul_f64 v[76:77], v[76:77], s[20:21]
	v_add_f64 v[62:63], v[82:83], v[62:63]
	v_mul_f64 v[82:83], v[60:61], s[16:17]
	v_fma_f64 v[152:153], v[92:93], s[14:15], -v[124:125]
	v_add_f64 v[102:103], v[142:143], v[132:133]
	v_add_f64 v[108:109], v[146:147], v[136:137]
	v_add_f64 v[12:13], v[12:13], v[78:79]
	v_fma_f64 v[78:79], v[92:93], s[4:5], -v[88:89]
	v_add_f64 v[94:95], v[98:99], v[94:95]
	v_mul_f64 v[98:99], v[60:61], s[36:37]
	v_fma_f64 v[88:89], v[92:93], s[4:5], v[88:89]
	v_add_f64 v[96:97], v[96:97], v[100:101]
	v_fma_f64 v[100:101], v[92:93], s[18:19], -v[76:77]
	v_fma_f64 v[76:77], v[92:93], s[18:19], v[76:77]
	v_fma_f64 v[92:93], v[62:63], s[14:15], -v[82:83]
	v_add_f64 v[80:81], v[152:153], v[102:103]
	v_add_f64 v[78:79], v[78:79], v[108:109]
	v_mul_f64 v[102:103], v[60:61], s[34:35]
	v_fma_f64 v[82:83], v[62:63], s[14:15], v[82:83]
	v_fma_f64 v[108:109], v[62:63], s[18:19], -v[98:99]
	v_add_f64 v[48:49], v[48:49], -v[72:73]
	v_add_f64 v[52:53], v[76:77], v[52:53]
	v_fma_f64 v[76:77], v[62:63], s[18:19], v[98:99]
	v_add_f64 v[54:55], v[92:93], v[54:55]
	v_mul_f64 v[92:93], v[60:61], s[30:31]
	v_fma_f64 v[98:99], v[62:63], s[10:11], -v[102:103]
	v_add_f64 v[82:83], v[82:83], v[84:85]
	v_add_f64 v[84:85], v[108:109], v[86:87]
	v_fma_f64 v[86:87], v[62:63], s[10:11], v[102:103]
	v_mul_f64 v[102:103], v[60:61], s[42:43]
	v_add_f64 v[110:111], v[118:119], v[110:111]
	v_add_f64 v[112:113], v[148:149], v[138:139]
	;; [unrolled: 1-line block ×3, first 2 shown]
	v_fma_f64 v[72:73], v[62:63], s[6:7], -v[92:93]
	v_fma_f64 v[90:91], v[62:63], s[6:7], v[92:93]
	v_mul_f64 v[60:61], v[60:61], s[40:41]
	v_add_f64 v[12:13], v[86:87], v[12:13]
	v_fma_f64 v[86:87], v[62:63], s[26:27], -v[102:103]
	v_add_f64 v[50:51], v[74:75], v[50:51]
	v_mul_f64 v[74:75], v[48:49], s[20:21]
	v_add_f64 v[88:89], v[88:89], v[110:111]
	v_add_f64 v[100:101], v[100:101], v[112:113]
	;; [unrolled: 1-line block ×3, first 2 shown]
	v_fma_f64 v[92:93], v[62:63], s[26:27], v[102:103]
	v_add_f64 v[90:91], v[90:91], v[94:95]
	v_fma_f64 v[94:95], v[62:63], s[4:5], -v[60:61]
	v_mul_f64 v[96:97], v[48:49], s[24:25]
	v_fma_f64 v[60:61], v[62:63], s[4:5], v[60:61]
	v_add_f64 v[62:63], v[86:87], v[78:79]
	v_fma_f64 v[78:79], v[50:51], s[18:19], -v[74:75]
	v_mul_f64 v[86:87], v[48:49], s[22:23]
	v_add_f64 v[88:89], v[92:93], v[88:89]
	v_fma_f64 v[74:75], v[50:51], s[18:19], v[74:75]
	v_add_f64 v[92:93], v[94:95], v[100:101]
	v_fma_f64 v[94:95], v[50:51], s[6:7], -v[96:97]
	v_add_f64 v[52:53], v[60:61], v[52:53]
	v_fma_f64 v[60:61], v[50:51], s[6:7], v[96:97]
	v_mul_f64 v[96:97], v[48:49], s[42:43]
	v_add_f64 v[80:81], v[98:99], v[80:81]
	v_add_f64 v[54:55], v[78:79], v[54:55]
	v_fma_f64 v[78:79], v[50:51], s[4:5], -v[86:87]
	v_add_f64 v[40:41], v[44:45], -v[40:41]
	v_add_f64 v[74:75], v[74:75], v[82:83]
	v_fma_f64 v[82:83], v[50:51], s[4:5], v[86:87]
	v_mul_f64 v[86:87], v[48:49], s[34:35]
	v_add_f64 v[60:61], v[60:61], v[76:77]
	v_fma_f64 v[76:77], v[50:51], s[26:27], -v[96:97]
	v_mul_f64 v[48:49], v[48:49], s[16:17]
	v_add_f64 v[44:45], v[78:79], v[80:81]
	v_fma_f64 v[78:79], v[50:51], s[26:27], v[96:97]
	v_add_f64 v[42:43], v[42:43], v[46:47]
	v_mul_f64 v[46:47], v[40:41], s[28:29]
	v_add_f64 v[12:13], v[82:83], v[12:13]
	v_fma_f64 v[80:81], v[50:51], s[10:11], -v[86:87]
	v_fma_f64 v[82:83], v[50:51], s[10:11], v[86:87]
	v_add_f64 v[72:73], v[76:77], v[72:73]
	v_fma_f64 v[76:77], v[50:51], s[14:15], -v[48:49]
	v_mul_f64 v[86:87], v[40:41], s[34:35]
	v_fma_f64 v[48:49], v[50:51], s[14:15], v[48:49]
	v_add_f64 v[50:51], v[78:79], v[90:91]
	v_fma_f64 v[78:79], v[42:43], s[26:27], -v[46:47]
	v_fma_f64 v[46:47], v[42:43], s[26:27], v[46:47]
	v_add_f64 v[62:63], v[80:81], v[62:63]
	v_add_f64 v[80:81], v[82:83], v[88:89]
	v_add_f64 v[84:85], v[94:95], v[84:85]
	v_fma_f64 v[82:83], v[42:43], s[10:11], -v[86:87]
	v_add_f64 v[48:49], v[48:49], v[52:53]
	v_fma_f64 v[52:53], v[42:43], s[10:11], v[86:87]
	v_mul_f64 v[86:87], v[40:41], s[20:21]
	v_add_f64 v[108:109], v[78:79], v[54:55]
	v_mul_f64 v[54:55], v[40:41], s[40:41]
	v_add_f64 v[110:111], v[46:47], v[74:75]
	v_mul_f64 v[46:47], v[40:41], s[16:17]
	v_mul_f64 v[40:41], v[40:41], s[24:25]
	v_add_f64 v[76:77], v[76:77], v[92:93]
	v_add_f64 v[116:117], v[52:53], v[60:61]
	v_fma_f64 v[52:53], v[42:43], s[18:19], -v[86:87]
	v_add_f64 v[112:113], v[82:83], v[84:85]
	v_fma_f64 v[74:75], v[42:43], s[4:5], -v[54:55]
	v_fma_f64 v[60:61], v[42:43], s[18:19], v[86:87]
	v_fma_f64 v[78:79], v[42:43], s[14:15], -v[46:47]
	v_fma_f64 v[54:55], v[42:43], s[4:5], v[54:55]
	v_fma_f64 v[46:47], v[42:43], s[14:15], v[46:47]
	v_fma_f64 v[82:83], v[42:43], s[6:7], -v[40:41]
	v_fma_f64 v[40:41], v[42:43], s[6:7], v[40:41]
	s_movk_i32 s4, 0xffa0
	v_add_f64 v[118:119], v[52:53], v[44:45]
	v_mad_i32_i24 v93, v106, s4, v107
	v_add_f64 v[122:123], v[74:75], v[72:73]
	v_add_f64 v[126:127], v[78:79], v[62:63]
	v_add_u32_e32 v94, 0x400, v93
	v_add_u32_e32 v95, 0x1000, v93
	;; [unrolled: 1-line block ×9, first 2 shown]
	v_add_f64 v[120:121], v[60:61], v[12:13]
	v_add_f64 v[124:125], v[54:55], v[50:51]
	;; [unrolled: 1-line block ×5, first 2 shown]
	s_waitcnt lgkmcnt(0)
	s_barrier
	ds_read2_b64 v[44:47], v93 offset1:91
	ds_read2_b64 v[40:43], v94 offset0:54 offset1:145
	ds_read2_b64 v[88:91], v95 offset0:34 offset1:125
	;; [unrolled: 1-line block ×9, first 2 shown]
	ds_read_b64 v[12:13], v93 offset:14560
	v_add_u32_e32 v92, 0x5b, v106
	s_waitcnt lgkmcnt(0)
	s_barrier
	ds_write2_b64 v107, v[114:115], v[108:109] offset1:1
	ds_write2_b64 v107, v[112:113], v[118:119] offset0:2 offset1:3
	ds_write2_b64 v107, v[122:123], v[126:127] offset0:4 offset1:5
	;; [unrolled: 1-line block ×5, first 2 shown]
	ds_write_b64 v107, v[110:111] offset:96
	s_and_saveexec_b64 s[4:5], s[0:1]
	s_cbranch_execz .LBB0_17
; %bb.16:
	v_add_f64 v[107:108], v[38:39], v[14:15]
	v_add_f64 v[36:37], v[36:37], -v[68:69]
	v_add_f64 v[28:29], v[28:29], -v[64:65]
	s_mov_b32 s24, 0x42a4c3d2
	s_mov_b32 s25, 0xbfea55e2
	v_add_f64 v[38:39], v[70:71], v[38:39]
	s_mov_b32 s0, 0x1ea71119
	s_mov_b32 s34, 0x66966769
	v_add_f64 v[68:69], v[30:31], v[107:108]
	v_mul_f64 v[107:108], v[36:37], s[24:25]
	s_mov_b32 s20, 0x2ef20147
	s_mov_b32 s22, 0x24c2f84
	;; [unrolled: 1-line block ×6, first 2 shown]
	v_add_f64 v[68:69], v[22:23], v[68:69]
	s_mov_b32 s21, 0xbfedeba7
	s_mov_b32 s23, 0xbfe5384d
	v_add_f64 v[30:31], v[66:67], v[30:31]
	v_mul_f64 v[109:110], v[36:37], s[34:35]
	v_mul_f64 v[111:112], v[36:37], s[20:21]
	;; [unrolled: 1-line block ×4, first 2 shown]
	v_add_f64 v[68:69], v[18:19], v[68:69]
	v_fma_f64 v[127:128], v[38:39], s[0:1], -v[107:108]
	v_fma_f64 v[107:108], v[38:39], s[0:1], v[107:108]
	s_mov_b32 s30, 0x4bc48dbf
	s_mov_b32 s31, 0xbfcea1e5
	;; [unrolled: 1-line block ×5, first 2 shown]
	v_add_f64 v[64:65], v[10:11], v[68:69]
	v_mul_f64 v[68:69], v[36:37], s[16:17]
	v_mul_f64 v[36:37], v[36:37], s[30:31]
	;; [unrolled: 1-line block ×6, first 2 shown]
	v_fma_f64 v[129:130], v[38:39], s[6:7], -v[109:110]
	v_add_f64 v[64:65], v[2:3], v[64:65]
	v_fma_f64 v[125:126], v[38:39], s[10:11], -v[68:69]
	v_fma_f64 v[68:69], v[38:39], s[10:11], v[68:69]
	v_fma_f64 v[109:110], v[38:39], s[6:7], v[109:110]
	v_fma_f64 v[131:132], v[38:39], s[14:15], -v[111:112]
	v_fma_f64 v[111:112], v[38:39], s[14:15], v[111:112]
	v_fma_f64 v[133:134], v[38:39], s[18:19], -v[113:114]
	v_fma_f64 v[137:138], v[30:31], s[14:15], -v[117:118]
	v_add_f64 v[64:65], v[6:7], v[64:65]
	v_fma_f64 v[117:118], v[30:31], s[14:15], v[117:118]
	v_add_f64 v[107:108], v[14:15], v[107:108]
	v_add_f64 v[20:21], v[20:21], -v[56:57]
	s_mov_b32 s28, 0x93053d00
	s_mov_b32 s29, 0xbfef11f4
	v_fma_f64 v[113:114], v[38:39], s[18:19], v[113:114]
	v_fma_f64 v[135:136], v[38:39], s[28:29], -v[36:37]
	v_add_f64 v[64:65], v[26:27], v[64:65]
	v_fma_f64 v[36:37], v[38:39], s[28:29], v[36:37]
	v_fma_f64 v[38:39], v[30:31], s[0:1], -v[115:116]
	v_fma_f64 v[115:116], v[30:31], s[0:1], v[115:116]
	v_fma_f64 v[139:140], v[30:31], s[28:29], -v[119:120]
	v_add_f64 v[125:126], v[14:15], v[125:126]
	v_add_f64 v[68:69], v[14:15], v[68:69]
	;; [unrolled: 1-line block ×7, first 2 shown]
	v_fma_f64 v[117:118], v[30:31], s[18:19], -v[121:122]
	v_add_f64 v[22:23], v[58:59], v[22:23]
	s_mov_b32 s17, 0x3fddbe06
	s_mov_b32 s39, 0x3fedeba7
	v_add_f64 v[64:65], v[58:59], v[64:65]
	v_mul_f64 v[58:59], v[20:21], s[34:35]
	s_mov_b32 s38, s20
	v_add_f64 v[127:128], v[14:15], v[127:128]
	v_add_f64 v[129:130], v[14:15], v[129:130]
	;; [unrolled: 1-line block ×4, first 2 shown]
	v_mul_f64 v[28:29], v[28:29], s[16:17]
	v_add_f64 v[64:65], v[66:67], v[64:65]
	v_add_f64 v[66:67], v[14:15], v[135:136]
	;; [unrolled: 1-line block ×5, first 2 shown]
	v_add_f64 v[16:17], v[16:17], -v[32:33]
	v_add_f64 v[68:69], v[137:138], v[127:128]
	v_add_f64 v[115:116], v[139:140], v[129:130]
	;; [unrolled: 1-line block ×3, first 2 shown]
	v_fma_f64 v[70:71], v[30:31], s[28:29], v[119:120]
	v_fma_f64 v[119:120], v[30:31], s[18:19], v[121:122]
	v_fma_f64 v[121:122], v[30:31], s[6:7], -v[123:124]
	v_fma_f64 v[123:124], v[30:31], s[6:7], v[123:124]
	v_add_f64 v[18:19], v[34:35], v[18:19]
	v_mul_f64 v[34:35], v[16:17], s[20:21]
	v_add_f64 v[8:9], v[8:9], -v[24:25]
	v_add_f64 v[10:11], v[26:27], v[10:11]
	v_add_f64 v[56:57], v[70:71], v[109:110]
	;; [unrolled: 1-line block ×4, first 2 shown]
	v_mul_f64 v[119:120], v[20:21], s[38:39]
	v_fma_f64 v[121:122], v[22:23], s[6:7], -v[58:59]
	v_fma_f64 v[58:59], v[22:23], s[6:7], v[58:59]
	v_add_f64 v[70:71], v[117:118], v[131:132]
	v_add_f64 v[113:114], v[123:124], v[113:114]
	v_fma_f64 v[117:118], v[30:31], s[10:11], -v[28:29]
	v_fma_f64 v[28:29], v[30:31], s[10:11], v[28:29]
	v_mul_f64 v[30:31], v[20:21], s[30:31]
	v_fma_f64 v[123:124], v[22:23], s[14:15], -v[119:120]
	v_add_f64 v[36:37], v[121:122], v[36:37]
	v_add_f64 v[38:39], v[58:59], v[38:39]
	v_fma_f64 v[58:59], v[22:23], s[14:15], v[119:120]
	v_mul_f64 v[119:120], v[20:21], s[24:25]
	v_add_f64 v[66:67], v[117:118], v[66:67]
	v_add_f64 v[14:15], v[28:29], v[14:15]
	v_mul_f64 v[28:29], v[20:21], s[16:17]
	v_fma_f64 v[117:118], v[22:23], s[28:29], -v[30:31]
	v_fma_f64 v[30:31], v[22:23], s[28:29], v[30:31]
	v_mul_f64 v[20:21], v[20:21], s[22:23]
	v_add_f64 v[32:33], v[58:59], v[56:57]
	v_fma_f64 v[56:57], v[22:23], s[0:1], -v[119:120]
	v_mul_f64 v[26:27], v[8:9], s[22:23]
	v_add_f64 v[0:1], v[0:1], -v[4:5]
	v_fma_f64 v[121:122], v[22:23], s[10:11], -v[28:29]
	v_fma_f64 v[28:29], v[22:23], s[10:11], v[28:29]
	v_add_f64 v[68:69], v[117:118], v[68:69]
	v_add_f64 v[30:31], v[30:31], v[107:108]
	;; [unrolled: 1-line block ×4, first 2 shown]
	v_mul_f64 v[111:112], v[16:17], s[16:17]
	v_fma_f64 v[115:116], v[22:23], s[18:19], -v[20:21]
	v_add_f64 v[58:59], v[121:122], v[70:71]
	v_fma_f64 v[70:71], v[22:23], s[0:1], v[119:120]
	v_add_f64 v[28:29], v[28:29], v[109:110]
	v_mul_f64 v[109:110], v[16:17], s[36:37]
	v_fma_f64 v[20:21], v[22:23], s[18:19], v[20:21]
	v_fma_f64 v[22:23], v[18:19], s[14:15], -v[34:35]
	v_fma_f64 v[34:35], v[18:19], s[14:15], v[34:35]
	v_fma_f64 v[117:118], v[18:19], s[10:11], -v[111:112]
	s_mov_b32 s37, 0x3fcea1e5
	s_mov_b32 s36, s30
	v_add_f64 v[70:71], v[70:71], v[113:114]
	v_fma_f64 v[113:114], v[18:19], s[18:19], -v[109:110]
	v_add_f64 v[66:67], v[115:116], v[66:67]
	v_mul_f64 v[115:116], v[16:17], s[34:35]
	v_add_f64 v[14:15], v[20:21], v[14:15]
	v_add_f64 v[20:21], v[22:23], v[36:37]
	;; [unrolled: 1-line block ×4, first 2 shown]
	v_fma_f64 v[38:39], v[18:19], s[10:11], v[111:112]
	v_mul_f64 v[107:108], v[16:17], s[36:37]
	s_mov_b32 s35, 0x3fea55e2
	s_mov_b32 s34, s24
	v_fma_f64 v[109:110], v[18:19], s[18:19], v[109:110]
	v_add_f64 v[34:35], v[113:114], v[68:69]
	v_fma_f64 v[68:69], v[18:19], s[6:7], -v[115:116]
	v_mul_f64 v[16:17], v[16:17], s[34:35]
	v_add_f64 v[24:25], v[38:39], v[32:33]
	v_fma_f64 v[38:39], v[18:19], s[28:29], -v[107:108]
	v_mul_f64 v[4:5], v[8:9], s[20:21]
	v_add_f64 v[2:3], v[6:7], v[2:3]
	v_add_f64 v[30:31], v[109:110], v[30:31]
	v_fma_f64 v[109:110], v[18:19], s[6:7], v[115:116]
	v_add_f64 v[32:33], v[68:69], v[58:59]
	v_fma_f64 v[58:59], v[18:19], s[28:29], v[107:108]
	v_fma_f64 v[68:69], v[18:19], s[0:1], -v[16:17]
	v_fma_f64 v[16:17], v[18:19], s[0:1], v[16:17]
	v_add_f64 v[18:19], v[38:39], v[56:57]
	v_mul_f64 v[38:39], v[8:9], s[24:25]
	v_fma_f64 v[56:57], v[10:11], s[18:19], -v[26:27]
	v_fma_f64 v[26:27], v[10:11], s[18:19], v[26:27]
	v_mul_f64 v[107:108], v[8:9], s[26:27]
	v_add_f64 v[58:59], v[58:59], v[70:71]
	v_mul_f64 v[6:7], v[0:1], s[30:31]
	v_add_f64 v[14:15], v[16:17], v[14:15]
	v_add_f64 v[28:29], v[109:110], v[28:29]
	v_fma_f64 v[70:71], v[10:11], s[0:1], -v[38:39]
	v_add_f64 v[20:21], v[56:57], v[20:21]
	v_add_f64 v[22:23], v[26:27], v[22:23]
	v_fma_f64 v[26:27], v[10:11], s[0:1], v[38:39]
	v_mul_f64 v[38:39], v[8:9], s[36:37]
	v_mul_f64 v[56:57], v[8:9], s[16:17]
	v_fma_f64 v[16:17], v[10:11], s[6:7], v[107:108]
	v_add_f64 v[66:67], v[68:69], v[66:67]
	v_fma_f64 v[68:69], v[10:11], s[6:7], -v[107:108]
	v_add_f64 v[8:9], v[26:27], v[24:25]
	v_fma_f64 v[24:25], v[10:11], s[28:29], -v[38:39]
	v_fma_f64 v[26:27], v[10:11], s[28:29], v[38:39]
	v_fma_f64 v[38:39], v[10:11], s[10:11], v[56:57]
	v_add_f64 v[16:17], v[16:17], v[30:31]
	v_add_f64 v[30:31], v[70:71], v[36:37]
	v_fma_f64 v[36:37], v[10:11], s[10:11], -v[56:57]
	v_fma_f64 v[56:57], v[10:11], s[14:15], -v[4:5]
	v_fma_f64 v[4:5], v[10:11], s[14:15], v[4:5]
	v_add_f64 v[10:11], v[24:25], v[32:33]
	v_mul_f64 v[24:25], v[0:1], s[16:17]
	v_fma_f64 v[32:33], v[2:3], s[28:29], -v[6:7]
	v_add_f64 v[26:27], v[26:27], v[28:29]
	v_add_f64 v[28:29], v[38:39], v[58:59]
	v_fma_f64 v[6:7], v[2:3], s[28:29], v[6:7]
	v_mul_f64 v[38:39], v[0:1], s[22:23]
	v_add_f64 v[34:35], v[68:69], v[34:35]
	v_add_f64 v[18:19], v[36:37], v[18:19]
	;; [unrolled: 1-line block ×4, first 2 shown]
	v_fma_f64 v[14:15], v[2:3], s[10:11], -v[24:25]
	v_fma_f64 v[24:25], v[2:3], s[10:11], v[24:25]
	v_mul_f64 v[56:57], v[0:1], s[34:35]
	v_add_f64 v[20:21], v[32:33], v[20:21]
	v_mul_f64 v[32:33], v[0:1], s[20:21]
	v_mul_f64 v[0:1], v[0:1], s[26:27]
	v_add_f64 v[6:7], v[6:7], v[22:23]
	v_fma_f64 v[22:23], v[2:3], s[18:19], -v[38:39]
	v_add_f64 v[14:15], v[14:15], v[34:35]
	v_add_f64 v[16:17], v[24:25], v[16:17]
	v_fma_f64 v[24:25], v[2:3], s[0:1], -v[56:57]
	v_fma_f64 v[34:35], v[2:3], s[0:1], v[56:57]
	v_fma_f64 v[56:57], v[2:3], s[14:15], -v[32:33]
	v_fma_f64 v[58:59], v[2:3], s[6:7], -v[0:1]
	v_fma_f64 v[0:1], v[2:3], s[6:7], v[0:1]
	v_fma_f64 v[32:33], v[2:3], s[14:15], v[32:33]
	;; [unrolled: 1-line block ×3, first 2 shown]
	v_add_f64 v[22:23], v[22:23], v[30:31]
	v_add_f64 v[10:11], v[24:25], v[10:11]
	;; [unrolled: 1-line block ×8, first 2 shown]
	s_movk_i32 s0, 0x68
	v_mad_u32_u24 v8, v92, s0, 0
	ds_write2_b64 v8, v[64:65], v[20:21] offset1:1
	ds_write2_b64 v8, v[14:15], v[22:23] offset0:2 offset1:3
	ds_write2_b64 v8, v[10:11], v[18:19] offset0:4 offset1:5
	;; [unrolled: 1-line block ×5, first 2 shown]
	ds_write_b64 v8, v[6:7] offset:96
.LBB0_17:
	s_or_b64 exec, exec, s[4:5]
	s_movk_i32 s0, 0x4f
	v_mul_lo_u16_sdwa v0, v106, s0 dst_sel:DWORD dst_unused:UNUSED_PAD src0_sel:BYTE_0 src1_sel:DWORD
	v_lshrrev_b16_e32 v0, 10, v0
	v_mul_lo_u16_e32 v1, 13, v0
	v_sub_u16_e32 v1, v106, v1
	v_mov_b32_e32 v30, 6
	v_mul_u32_u24_sdwa v2, v1, v30 dst_sel:DWORD dst_unused:UNUSED_PAD src0_sel:BYTE_0 src1_sel:DWORD
	v_lshlrev_b32_e32 v2, 4, v2
	s_waitcnt lgkmcnt(0)
	s_barrier
	global_load_dwordx4 v[4:7], v2, s[8:9]
	global_load_dwordx4 v[8:11], v2, s[8:9] offset:16
	global_load_dwordx4 v[14:17], v2, s[8:9] offset:48
	;; [unrolled: 1-line block ×5, first 2 shown]
	v_mul_lo_u16_sdwa v2, v92, s0 dst_sel:DWORD dst_unused:UNUSED_PAD src0_sel:BYTE_0 src1_sel:DWORD
	v_lshrrev_b16_e32 v2, 10, v2
	v_mul_lo_u16_e32 v3, 13, v2
	v_sub_u16_e32 v3, v92, v3
	v_mul_u32_u24_sdwa v30, v3, v30 dst_sel:DWORD dst_unused:UNUSED_PAD src0_sel:BYTE_0 src1_sel:DWORD
	v_lshlrev_b32_e32 v38, 4, v30
	v_add_u32_e32 v56, 0xb6, v106
	s_movk_i32 s0, 0x4ec5
	global_load_dwordx4 v[30:33], v38, s[8:9]
	global_load_dwordx4 v[34:37], v38, s[8:9] offset:16
	global_load_dwordx4 v[64:67], v38, s[8:9] offset:32
	;; [unrolled: 1-line block ×5, first 2 shown]
	v_mul_u32_u24_sdwa v38, v56, s0 dst_sel:DWORD dst_unused:UNUSED_PAD src0_sel:WORD_0 src1_sel:DWORD
	v_lshrrev_b32_e32 v103, 18, v38
	v_mul_lo_u16_e32 v38, 13, v103
	v_sub_u16_e32 v201, v56, v38
	v_mul_u32_u24_e32 v38, 6, v201
	v_lshlrev_b32_e32 v38, 4, v38
	global_load_dwordx4 v[115:118], v38, s[8:9]
	global_load_dwordx4 v[119:122], v38, s[8:9] offset:16
	global_load_dwordx4 v[123:126], v38, s[8:9] offset:32
	;; [unrolled: 1-line block ×5, first 2 shown]
	ds_read2_b64 v[139:142], v93 offset1:91
	ds_read2_b64 v[143:146], v94 offset0:54 offset1:145
	ds_read2_b64 v[147:150], v95 offset0:34 offset1:125
	;; [unrolled: 1-line block ×9, first 2 shown]
	ds_read_b64 v[38:39], v93 offset:14560
	s_mov_b32 s4, 0x37e14327
	s_mov_b32 s0, 0x36b3c0b5
	;; [unrolled: 1-line block ×20, first 2 shown]
	v_mul_u32_u24_e32 v0, 0x2d8, v0
	s_waitcnt vmcnt(0) lgkmcnt(0)
	s_barrier
	s_movk_i32 s26, 0x6817
	v_mul_f64 v[57:58], v[145:146], v[6:7]
	v_mul_f64 v[6:7], v[42:43], v[6:7]
	;; [unrolled: 1-line block ×19, first 2 shown]
	v_fma_f64 v[42:43], v[42:43], v[4:5], v[57:58]
	v_fma_f64 v[4:5], v[145:146], v[4:5], -v[6:7]
	v_fma_f64 v[6:7], v[88:89], v[8:9], v[179:180]
	v_fma_f64 v[8:9], v[147:148], v[8:9], -v[10:11]
	;; [unrolled: 2-line block ×4, first 2 shown]
	v_fma_f64 v[16:17], v[54:55], v[26:27], v[185:186]
	v_mul_f64 v[54:55], v[169:170], v[117:118]
	v_mul_f64 v[70:71], v[82:83], v[70:71]
	v_mul_f64 v[197:198], v[175:176], v[109:110]
	v_fma_f64 v[26:27], v[161:162], v[26:27], -v[28:29]
	v_fma_f64 v[28:29], v[84:85], v[22:23], v[187:188]
	v_fma_f64 v[22:23], v[163:164], v[22:23], -v[24:25]
	v_fma_f64 v[24:25], v[76:77], v[30:31], v[189:190]
	;; [unrolled: 2-line block ×4, first 2 shown]
	v_fma_f64 v[50:51], v[171:172], v[64:65], -v[66:67]
	v_mul_f64 v[57:58], v[78:79], v[117:118]
	v_fma_f64 v[64:65], v[82:83], v[68:69], v[195:196]
	v_fma_f64 v[54:55], v[78:79], v[115:116], v[54:55]
	v_mul_f64 v[76:77], v[151:152], v[121:122]
	v_mul_f64 v[78:79], v[48:49], v[121:122]
	;; [unrolled: 1-line block ×6, first 2 shown]
	v_fma_f64 v[59:60], v[60:61], v[107:108], v[197:198]
	v_mul_f64 v[199:200], v[165:166], v[113:114]
	v_fma_f64 v[48:49], v[48:49], v[119:120], v[76:77]
	v_fma_f64 v[76:77], v[151:152], v[119:120], -v[78:79]
	v_fma_f64 v[78:79], v[173:174], v[123:124], -v[82:83]
	v_fma_f64 v[61:62], v[62:63], v[131:132], v[88:89]
	v_fma_f64 v[82:83], v[177:178], v[131:132], -v[90:91]
	v_add_f64 v[88:89], v[42:43], v[28:29]
	v_add_f64 v[90:91], v[4:5], v[22:23]
	v_add_f64 v[28:29], v[42:43], -v[28:29]
	v_add_f64 v[4:5], v[4:5], -v[22:23]
	v_add_f64 v[22:23], v[6:7], v[16:17]
	v_add_f64 v[42:43], v[8:9], v[26:27]
	v_mul_f64 v[113:114], v[86:87], v[113:114]
	v_add_f64 v[6:7], v[6:7], -v[16:17]
	v_add_f64 v[8:9], v[8:9], -v[26:27]
	v_add_f64 v[16:17], v[10:11], v[20:21]
	v_add_f64 v[26:27], v[18:19], v[14:15]
	v_add_f64 v[10:11], v[20:21], -v[10:11]
	v_add_f64 v[14:15], v[14:15], -v[18:19]
	v_add_f64 v[18:19], v[22:23], v[88:89]
	v_add_f64 v[20:21], v[42:43], v[90:91]
	v_fma_f64 v[66:67], v[157:158], v[68:69], -v[70:71]
	v_fma_f64 v[68:69], v[175:176], v[107:108], -v[109:110]
	v_fma_f64 v[70:71], v[86:87], v[111:112], v[199:200]
	v_fma_f64 v[72:73], v[165:166], v[111:112], -v[113:114]
	v_fma_f64 v[57:58], v[169:170], v[115:116], -v[57:58]
	v_add_f64 v[107:108], v[22:23], -v[88:89]
	v_add_f64 v[109:110], v[42:43], -v[90:91]
	;; [unrolled: 1-line block ×6, first 2 shown]
	v_add_f64 v[111:112], v[10:11], v[6:7]
	v_add_f64 v[113:114], v[14:15], v[8:9]
	v_add_f64 v[115:116], v[10:11], -v[6:7]
	v_add_f64 v[117:118], v[14:15], -v[8:9]
	v_add_f64 v[16:17], v[16:17], v[18:19]
	v_add_f64 v[18:19], v[26:27], v[20:21]
	v_add_f64 v[6:7], v[6:7], -v[28:29]
	v_add_f64 v[8:9], v[8:9], -v[4:5]
	;; [unrolled: 1-line block ×4, first 2 shown]
	v_add_f64 v[20:21], v[111:112], v[28:29]
	v_add_f64 v[4:5], v[113:114], v[4:5]
	;; [unrolled: 1-line block ×4, first 2 shown]
	v_mul_f64 v[28:29], v[88:89], s[4:5]
	v_mul_f64 v[88:89], v[90:91], s[4:5]
	;; [unrolled: 1-line block ×11, first 2 shown]
	v_fma_f64 v[16:17], v[16:17], s[14:15], v[26:27]
	v_fma_f64 v[18:19], v[18:19], s[14:15], v[44:45]
	;; [unrolled: 1-line block ×4, first 2 shown]
	v_fma_f64 v[90:91], v[107:108], s[16:17], -v[90:91]
	v_fma_f64 v[111:112], v[109:110], s[16:17], -v[111:112]
	v_fma_f64 v[28:29], v[107:108], s[18:19], -v[28:29]
	v_fma_f64 v[88:89], v[109:110], s[18:19], -v[88:89]
	v_fma_f64 v[107:108], v[10:11], s[20:21], v[113:114]
	v_fma_f64 v[109:110], v[14:15], s[20:21], v[115:116]
	v_fma_f64 v[6:7], v[6:7], s[6:7], -v[113:114]
	v_fma_f64 v[8:9], v[8:9], s[6:7], -v[115:116]
	;; [unrolled: 1-line block ×4, first 2 shown]
	v_fma_f64 v[74:75], v[74:75], v[123:124], v[80:81]
	v_fma_f64 v[52:53], v[52:53], v[127:128], v[84:85]
	v_fma_f64 v[80:81], v[159:160], v[127:128], -v[86:87]
	v_mul_f64 v[84:85], v[38:39], v[137:138]
	v_mul_f64 v[86:87], v[12:13], v[137:138]
	v_add_f64 v[22:23], v[22:23], v[16:17]
	v_add_f64 v[42:43], v[42:43], v[18:19]
	;; [unrolled: 1-line block ×6, first 2 shown]
	v_fma_f64 v[28:29], v[4:5], s[22:23], v[109:110]
	v_fma_f64 v[14:15], v[4:5], s[22:23], v[14:15]
	;; [unrolled: 1-line block ×7, first 2 shown]
	v_fma_f64 v[12:13], v[38:39], v[135:136], -v[86:87]
	v_add_f64 v[20:21], v[28:29], v[22:23]
	v_add_f64 v[38:39], v[14:15], v[16:17]
	v_add_f64 v[86:87], v[18:19], -v[10:11]
	v_add_f64 v[107:108], v[90:91], -v[4:5]
	v_add_f64 v[109:110], v[6:7], v[111:112]
	v_add_f64 v[4:5], v[4:5], v[90:91]
	v_add_f64 v[90:91], v[111:112], -v[6:7]
	v_add_f64 v[6:7], v[16:17], -v[14:15]
	v_add_f64 v[111:112], v[10:11], v[18:19]
	v_add_f64 v[10:11], v[24:25], v[70:71]
	v_add_f64 v[14:15], v[30:31], v[72:73]
	v_add_f64 v[16:17], v[24:25], -v[70:71]
	v_add_f64 v[18:19], v[30:31], -v[72:73]
	v_add_f64 v[24:25], v[32:33], v[59:60]
	v_add_f64 v[30:31], v[34:35], v[68:69]
	v_add_f64 v[32:33], v[32:33], -v[59:60]
	v_add_f64 v[34:35], v[34:35], -v[68:69]
	v_add_f64 v[59:60], v[36:37], v[64:65]
	v_add_f64 v[68:69], v[50:51], v[66:67]
	;; [unrolled: 4-line block ×3, first 2 shown]
	v_add_f64 v[70:71], v[24:25], -v[10:11]
	v_add_f64 v[72:73], v[30:31], -v[14:15]
	;; [unrolled: 1-line block ×6, first 2 shown]
	v_add_f64 v[113:114], v[36:37], v[32:33]
	v_add_f64 v[115:116], v[50:51], v[34:35]
	v_add_f64 v[117:118], v[36:37], -v[32:33]
	v_add_f64 v[119:120], v[50:51], -v[34:35]
	v_add_f64 v[59:60], v[59:60], v[63:64]
	v_add_f64 v[63:64], v[68:69], v[65:66]
	v_add_f64 v[32:33], v[32:33], -v[16:17]
	v_add_f64 v[34:35], v[34:35], -v[18:19]
	;; [unrolled: 1-line block ×4, first 2 shown]
	v_add_f64 v[16:17], v[113:114], v[16:17]
	v_add_f64 v[18:19], v[115:116], v[18:19]
	;; [unrolled: 1-line block ×4, first 2 shown]
	v_mul_f64 v[10:11], v[10:11], s[4:5]
	v_mul_f64 v[14:15], v[14:15], s[4:5]
	;; [unrolled: 1-line block ×8, first 2 shown]
	v_fma_f64 v[59:60], v[59:60], s[14:15], v[46:47]
	v_fma_f64 v[63:64], v[63:64], s[14:15], v[65:66]
	;; [unrolled: 1-line block ×4, first 2 shown]
	v_fma_f64 v[67:68], v[70:71], s[16:17], -v[67:68]
	v_fma_f64 v[113:114], v[72:73], s[16:17], -v[113:114]
	;; [unrolled: 1-line block ×4, first 2 shown]
	v_fma_f64 v[69:70], v[36:37], s[20:21], v[115:116]
	v_fma_f64 v[71:72], v[50:51], s[20:21], v[117:118]
	v_fma_f64 v[36:37], v[36:37], s[24:25], -v[119:120]
	v_fma_f64 v[50:51], v[50:51], s[24:25], -v[121:122]
	;; [unrolled: 1-line block ×4, first 2 shown]
	v_add_f64 v[10:11], v[10:11], v[59:60]
	v_add_f64 v[14:15], v[14:15], v[63:64]
	;; [unrolled: 1-line block ×4, first 2 shown]
	v_fma_f64 v[36:37], v[16:17], s[22:23], v[36:37]
	v_fma_f64 v[50:51], v[18:19], s[22:23], v[50:51]
	v_add_f64 v[67:68], v[67:68], v[59:60]
	v_add_f64 v[113:114], v[113:114], v[63:64]
	v_fma_f64 v[59:60], v[18:19], s[22:23], v[71:72]
	v_fma_f64 v[63:64], v[16:17], s[22:23], v[69:70]
	v_fma_f64 v[18:19], v[18:19], s[22:23], v[34:35]
	v_fma_f64 v[16:17], v[16:17], s[22:23], v[32:33]
	v_add_f64 v[71:72], v[14:15], -v[36:37]
	v_add_f64 v[32:33], v[50:51], v[10:11]
	v_add_f64 v[10:11], v[10:11], -v[50:51]
	v_add_f64 v[50:51], v[36:37], v[14:15]
	v_add_f64 v[14:15], v[54:55], v[8:9]
	;; [unrolled: 1-line block ×3, first 2 shown]
	v_add_f64 v[84:85], v[42:43], -v[88:89]
	v_add_f64 v[42:43], v[88:89], v[42:43]
	v_add_f64 v[34:35], v[67:68], -v[18:19]
	v_add_f64 v[88:89], v[16:17], v[113:114]
	v_add_f64 v[18:19], v[18:19], v[67:68]
	v_add_f64 v[67:68], v[113:114], -v[16:17]
	v_add_f64 v[16:17], v[57:58], v[12:13]
	v_add_f64 v[8:9], v[54:55], -v[8:9]
	;; [unrolled: 2-line block ×3, first 2 shown]
	v_add_f64 v[48:49], v[48:49], -v[61:62]
	v_add_f64 v[57:58], v[76:77], -v[82:83]
	v_add_f64 v[61:62], v[74:75], v[52:53]
	v_add_f64 v[76:77], v[78:79], v[80:81]
	v_add_f64 v[52:53], v[52:53], -v[74:75]
	v_add_f64 v[73:74], v[80:81], -v[78:79]
	v_add_f64 v[78:79], v[36:37], v[14:15]
	v_add_f64 v[80:81], v[54:55], v[16:17]
	v_add_f64 v[82:83], v[36:37], -v[14:15]
	v_add_f64 v[113:114], v[54:55], -v[16:17]
	v_add_f64 v[14:15], v[14:15], -v[61:62]
	v_add_f64 v[16:17], v[16:17], -v[76:77]
	v_add_f64 v[36:37], v[61:62], -v[36:37]
	v_add_f64 v[54:55], v[76:77], -v[54:55]
	v_add_f64 v[115:116], v[52:53], v[48:49]
	v_add_f64 v[117:118], v[73:74], v[57:58]
	v_add_f64 v[119:120], v[52:53], -v[48:49]
	v_add_f64 v[121:122], v[73:74], -v[57:58]
	v_add_f64 v[61:62], v[61:62], v[78:79]
	v_add_f64 v[57:58], v[57:58], -v[12:13]
	v_add_f64 v[75:76], v[76:77], v[80:81]
	v_add_f64 v[48:49], v[48:49], -v[8:9]
	v_add_f64 v[52:53], v[8:9], -v[52:53]
	;; [unrolled: 1-line block ×3, first 2 shown]
	v_add_f64 v[8:9], v[115:116], v[8:9]
	v_add_f64 v[12:13], v[117:118], v[12:13]
	;; [unrolled: 1-line block ×3, first 2 shown]
	v_mul_f64 v[14:15], v[14:15], s[4:5]
	v_mul_f64 v[16:17], v[16:17], s[4:5]
	;; [unrolled: 1-line block ×7, first 2 shown]
	v_add_f64 v[77:78], v[143:144], v[75:76]
	v_mul_f64 v[121:122], v[48:49], s[6:7]
	v_fma_f64 v[61:62], v[61:62], s[14:15], v[40:41]
	v_fma_f64 v[36:37], v[36:37], s[0:1], v[14:15]
	;; [unrolled: 1-line block ×3, first 2 shown]
	v_fma_f64 v[79:80], v[82:83], s[16:17], -v[79:80]
	v_fma_f64 v[115:116], v[113:114], s[16:17], -v[115:116]
	;; [unrolled: 1-line block ×4, first 2 shown]
	v_fma_f64 v[113:114], v[73:74], s[20:21], v[119:120]
	v_fma_f64 v[57:58], v[57:58], s[6:7], -v[119:120]
	v_fma_f64 v[73:74], v[73:74], s[24:25], -v[123:124]
	v_fma_f64 v[75:76], v[75:76], s[14:15], v[77:78]
	v_fma_f64 v[81:82], v[52:53], s[20:21], v[117:118]
	v_fma_f64 v[48:49], v[48:49], s[6:7], -v[117:118]
	v_fma_f64 v[52:53], v[52:53], s[24:25], -v[121:122]
	v_add_f64 v[36:37], v[36:37], v[61:62]
	v_add_f64 v[79:80], v[79:80], v[61:62]
	;; [unrolled: 1-line block ×3, first 2 shown]
	v_fma_f64 v[61:62], v[12:13], s[22:23], v[113:114]
	v_fma_f64 v[73:74], v[12:13], s[22:23], v[73:74]
	;; [unrolled: 1-line block ×3, first 2 shown]
	v_add_f64 v[54:55], v[54:55], v[75:76]
	v_add_f64 v[115:116], v[115:116], v[75:76]
	;; [unrolled: 1-line block ×3, first 2 shown]
	v_fma_f64 v[75:76], v[8:9], s[22:23], v[81:82]
	v_fma_f64 v[52:53], v[8:9], s[22:23], v[52:53]
	;; [unrolled: 1-line block ×3, first 2 shown]
	v_add_f64 v[22:23], v[22:23], -v[28:29]
	v_add_f64 v[28:29], v[59:60], v[24:25]
	v_add_f64 v[69:70], v[30:31], -v[63:64]
	v_add_f64 v[48:49], v[63:64], v[30:31]
	v_add_f64 v[30:31], v[61:62], v[36:37]
	v_add_f64 v[24:25], v[24:25], -v[59:60]
	v_add_f64 v[59:60], v[73:74], v[14:15]
	v_add_f64 v[81:82], v[79:80], -v[12:13]
	v_add_f64 v[113:114], v[8:9], v[115:116]
	v_add_f64 v[12:13], v[12:13], v[79:80]
	v_add_f64 v[79:80], v[115:116], -v[8:9]
	v_add_f64 v[8:9], v[14:15], -v[73:74]
	;; [unrolled: 1-line block ×3, first 2 shown]
	v_add_f64 v[52:53], v[52:53], v[16:17]
	v_add_f64 v[14:15], v[36:37], -v[61:62]
	v_mov_b32_e32 v16, 3
	v_lshlrev_b32_sdwa v1, v16, v1 dst_sel:DWORD dst_unused:UNUSED_PAD src0_sel:DWORD src1_sel:BYTE_0
	v_add3_u32 v61, 0, v0, v1
	v_mul_u32_u24_e32 v0, 0x2d8, v2
	v_lshlrev_b32_sdwa v1, v16, v3 dst_sel:DWORD dst_unused:UNUSED_PAD src0_sel:DWORD src1_sel:BYTE_0
	v_add3_u32 v62, 0, v0, v1
	v_mul_u32_u24_e32 v0, 0x2d8, v103
	v_lshlrev_b32_e32 v1, 3, v201
	ds_write2_b64 v61, v[26:27], v[20:21] offset1:13
	ds_write2_b64 v61, v[38:39], v[107:108] offset0:26 offset1:39
	ds_write2_b64 v61, v[4:5], v[6:7] offset0:52 offset1:65
	ds_write_b64 v61, v[22:23] offset:624
	ds_write2_b64 v62, v[46:47], v[28:29] offset1:13
	ds_write2_b64 v62, v[32:33], v[34:35] offset0:26 offset1:39
	ds_write2_b64 v62, v[18:19], v[10:11] offset0:52 offset1:65
	ds_write_b64 v62, v[24:25] offset:624
	v_add3_u32 v46, 0, v0, v1
	ds_write2_b64 v46, v[40:41], v[30:31] offset1:13
	ds_write2_b64 v46, v[59:60], v[81:82] offset0:26 offset1:39
	ds_write2_b64 v46, v[12:13], v[8:9] offset0:52 offset1:65
	ds_write_b64 v46, v[14:15] offset:624
	v_mul_u32_u24_e32 v40, 6, v106
	v_add_f64 v[57:58], v[54:55], -v[75:76]
	v_add_f64 v[54:55], v[75:76], v[54:55]
	s_waitcnt lgkmcnt(0)
	s_barrier
	ds_read2_b64 v[4:7], v93 offset1:91
	ds_read2_b64 v[0:3], v94 offset0:54 offset1:145
	ds_read2_b64 v[8:11], v95 offset0:34 offset1:125
	;; [unrolled: 1-line block ×9, first 2 shown]
	ds_read_b64 v[147:148], v93 offset:14560
	s_waitcnt lgkmcnt(0)
	s_barrier
	ds_write2_b64 v61, v[44:45], v[84:85] offset1:13
	ds_write2_b64 v61, v[86:87], v[109:110] offset0:26 offset1:39
	ds_write2_b64 v61, v[90:91], v[111:112] offset0:52 offset1:65
	ds_write_b64 v61, v[42:43] offset:624
	ds_write2_b64 v62, v[65:66], v[69:70] offset1:13
	ds_write2_b64 v62, v[71:72], v[88:89] offset0:26 offset1:39
	ds_write2_b64 v62, v[67:68], v[50:51] offset0:52 offset1:65
	ds_write_b64 v62, v[48:49] offset:624
	;; [unrolled: 4-line block ×3, first 2 shown]
	v_lshlrev_b32_e32 v65, 4, v40
	s_waitcnt lgkmcnt(0)
	s_barrier
	global_load_dwordx4 v[40:43], v65, s[8:9] offset:1248
	global_load_dwordx4 v[44:47], v65, s[8:9] offset:1264
	;; [unrolled: 1-line block ×6, first 2 shown]
	v_mul_u32_u24_sdwa v65, v56, s26 dst_sel:DWORD dst_unused:UNUSED_PAD src0_sel:WORD_0 src1_sel:DWORD
	v_sub_u16_sdwa v66, v56, v65 dst_sel:DWORD dst_unused:UNUSED_PAD src0_sel:DWORD src1_sel:WORD_1
	v_lshrrev_b16_e32 v66, 1, v66
	v_add_u16_sdwa v65, v66, v65 dst_sel:DWORD dst_unused:UNUSED_PAD src0_sel:DWORD src1_sel:WORD_1
	v_lshrrev_b16_e32 v65, 6, v65
	v_mul_lo_u16_e32 v65, 0x5b, v65
	v_sub_u16_e32 v91, v56, v65
	v_mul_u32_u24_e32 v65, 6, v91
	v_lshlrev_b32_e32 v89, 4, v65
	global_load_dwordx4 v[65:68], v89, s[8:9] offset:1248
	global_load_dwordx4 v[69:72], v89, s[8:9] offset:1264
	;; [unrolled: 1-line block ×6, first 2 shown]
	ds_read2_b64 v[107:110], v94 offset0:54 offset1:145
	ds_read2_b64 v[111:114], v93 offset1:91
	ds_read2_b64 v[115:118], v95 offset0:34 offset1:125
	ds_read2_b64 v[119:122], v96 offset0:88 offset1:179
	;; [unrolled: 1-line block ×8, first 2 shown]
	ds_read_b64 v[151:152], v93 offset:14560
	s_waitcnt vmcnt(0) lgkmcnt(0)
	s_barrier
	v_mul_f64 v[89:90], v[109:110], v[42:43]
	v_mul_f64 v[149:150], v[2:3], v[42:43]
	;; [unrolled: 1-line block ×8, first 2 shown]
	v_fma_f64 v[2:3], v[2:3], v[40:41], v[89:90]
	v_fma_f64 v[89:90], v[109:110], v[40:41], -v[149:150]
	v_mul_f64 v[109:110], v[115:116], v[46:47]
	v_mul_f64 v[149:150], v[8:9], v[46:47]
	v_fma_f64 v[14:15], v[14:15], v[48:49], v[153:154]
	v_fma_f64 v[16:17], v[16:17], v[52:53], v[157:158]
	v_mul_f64 v[153:154], v[135:136], v[42:43]
	v_mul_f64 v[42:43], v[28:29], v[42:43]
	;; [unrolled: 1-line block ×4, first 2 shown]
	v_fma_f64 v[8:9], v[8:9], v[44:45], v[109:110]
	v_fma_f64 v[109:110], v[115:116], v[44:45], -v[149:150]
	v_fma_f64 v[115:116], v[121:122], v[48:49], -v[155:156]
	v_mul_f64 v[155:156], v[117:118], v[46:47]
	v_mul_f64 v[46:47], v[10:11], v[46:47]
	v_fma_f64 v[121:122], v[123:124], v[52:53], -v[159:160]
	v_fma_f64 v[123:124], v[129:130], v[57:58], -v[163:164]
	v_mul_f64 v[129:130], v[131:132], v[63:64]
	v_mul_f64 v[149:150], v[24:25], v[63:64]
	v_fma_f64 v[28:29], v[28:29], v[40:41], v[153:154]
	v_fma_f64 v[40:41], v[135:136], v[40:41], -v[42:43]
	v_fma_f64 v[10:11], v[10:11], v[44:45], v[155:156]
	v_fma_f64 v[42:43], v[117:118], v[44:45], -v[46:47]
	;; [unrolled: 2-line block ×3, first 2 shown]
	v_mul_f64 v[46:47], v[125:126], v[54:55]
	v_mul_f64 v[48:49], v[18:19], v[54:55]
	;; [unrolled: 1-line block ×8, first 2 shown]
	v_fma_f64 v[22:23], v[22:23], v[57:58], v[161:162]
	v_fma_f64 v[24:25], v[24:25], v[61:62], v[129:130]
	v_fma_f64 v[129:130], v[131:132], v[61:62], -v[149:150]
	v_fma_f64 v[18:19], v[18:19], v[52:53], v[46:47]
	v_fma_f64 v[46:47], v[125:126], v[52:53], -v[48:49]
	;; [unrolled: 2-line block ×4, first 2 shown]
	v_fma_f64 v[52:53], v[137:138], v[65:66], -v[67:68]
	v_mul_f64 v[54:55], v[119:120], v[71:72]
	v_mul_f64 v[57:58], v[12:13], v[71:72]
	;; [unrolled: 1-line block ×6, first 2 shown]
	v_fma_f64 v[30:31], v[30:31], v[65:66], v[117:118]
	v_mul_f64 v[63:64], v[127:128], v[79:80]
	v_mul_f64 v[65:66], v[20:21], v[79:80]
	v_fma_f64 v[12:13], v[12:13], v[69:70], v[54:55]
	v_fma_f64 v[54:55], v[119:120], v[69:70], -v[57:58]
	v_fma_f64 v[34:35], v[34:35], v[73:74], v[59:60]
	v_fma_f64 v[57:58], v[141:142], v[73:74], -v[61:62]
	;; [unrolled: 2-line block ×3, first 2 shown]
	v_add_f64 v[67:68], v[2:3], v[24:25]
	v_add_f64 v[69:70], v[89:90], v[129:130]
	;; [unrolled: 1-line block ×4, first 2 shown]
	v_fma_f64 v[20:21], v[20:21], v[77:78], v[63:64]
	v_fma_f64 v[59:60], v[127:128], v[77:78], -v[65:66]
	v_add_f64 v[2:3], v[2:3], -v[24:25]
	v_add_f64 v[24:25], v[89:90], -v[129:130]
	;; [unrolled: 1-line block ×4, first 2 shown]
	v_add_f64 v[75:76], v[14:15], v[16:17]
	v_add_f64 v[77:78], v[115:116], v[121:122]
	v_add_f64 v[14:15], v[16:17], -v[14:15]
	v_add_f64 v[16:17], v[121:122], -v[115:116]
	v_add_f64 v[79:80], v[71:72], v[67:68]
	v_add_f64 v[81:82], v[73:74], v[69:70]
	v_mul_f64 v[63:64], v[151:152], v[87:88]
	v_mul_f64 v[65:66], v[147:148], v[87:88]
	v_add_f64 v[83:84], v[71:72], -v[67:68]
	v_add_f64 v[87:88], v[73:74], -v[69:70]
	;; [unrolled: 1-line block ×6, first 2 shown]
	v_add_f64 v[89:90], v[14:15], v[8:9]
	v_add_f64 v[109:110], v[16:17], v[22:23]
	v_add_f64 v[115:116], v[14:15], -v[8:9]
	v_add_f64 v[117:118], v[16:17], -v[22:23]
	v_add_f64 v[75:76], v[75:76], v[79:80]
	v_add_f64 v[77:78], v[77:78], v[81:82]
	v_add_f64 v[8:9], v[8:9], -v[2:3]
	v_add_f64 v[22:23], v[22:23], -v[24:25]
	;; [unrolled: 1-line block ×4, first 2 shown]
	v_add_f64 v[2:3], v[89:90], v[2:3]
	v_add_f64 v[24:25], v[109:110], v[24:25]
	;; [unrolled: 1-line block ×4, first 2 shown]
	v_mul_f64 v[67:68], v[67:68], s[4:5]
	v_mul_f64 v[69:70], v[69:70], s[4:5]
	;; [unrolled: 1-line block ×8, first 2 shown]
	v_fma_f64 v[75:76], v[75:76], s[14:15], v[4:5]
	v_fma_f64 v[77:78], v[77:78], s[14:15], v[79:80]
	v_fma_f64 v[71:72], v[71:72], s[0:1], v[67:68]
	v_fma_f64 v[73:74], v[73:74], s[0:1], v[69:70]
	v_fma_f64 v[81:82], v[83:84], s[16:17], -v[81:82]
	v_fma_f64 v[89:90], v[87:88], s[16:17], -v[89:90]
	;; [unrolled: 1-line block ×4, first 2 shown]
	v_fma_f64 v[83:84], v[14:15], s[20:21], v[109:110]
	v_fma_f64 v[87:88], v[16:17], s[20:21], v[111:112]
	v_fma_f64 v[8:9], v[8:9], s[6:7], -v[109:110]
	v_fma_f64 v[22:23], v[22:23], s[6:7], -v[111:112]
	;; [unrolled: 1-line block ×4, first 2 shown]
	v_add_f64 v[73:74], v[73:74], v[77:78]
	v_add_f64 v[81:82], v[81:82], v[75:76]
	;; [unrolled: 1-line block ×5, first 2 shown]
	v_fma_f64 v[77:78], v[2:3], s[22:23], v[83:84]
	v_fma_f64 v[14:15], v[2:3], s[22:23], v[14:15]
	;; [unrolled: 1-line block ×5, first 2 shown]
	v_add_f64 v[71:72], v[71:72], v[75:76]
	v_fma_f64 v[75:76], v[24:25], s[22:23], v[87:88]
	v_fma_f64 v[8:9], v[147:148], v[85:86], v[63:64]
	v_fma_f64 v[24:25], v[151:152], v[85:86], -v[65:66]
	v_add_f64 v[85:86], v[69:70], -v[14:15]
	v_add_f64 v[83:84], v[16:17], v[67:68]
	v_add_f64 v[87:88], v[81:82], -v[22:23]
	v_add_f64 v[109:110], v[2:3], v[89:90]
	v_add_f64 v[22:23], v[22:23], v[81:82]
	v_add_f64 v[81:82], v[89:90], -v[2:3]
	v_add_f64 v[2:3], v[67:68], -v[16:17]
	v_add_f64 v[67:68], v[14:15], v[69:70]
	v_add_f64 v[14:15], v[28:29], v[26:27]
	v_add_f64 v[16:17], v[40:41], v[50:51]
	v_add_f64 v[26:27], v[28:29], -v[26:27]
	v_add_f64 v[28:29], v[40:41], -v[50:51]
	v_add_f64 v[40:41], v[10:11], v[36:37]
	v_add_f64 v[50:51], v[42:43], v[48:49]
	v_add_f64 v[10:11], v[10:11], -v[36:37]
	v_add_f64 v[36:37], v[42:43], -v[48:49]
	v_add_f64 v[42:43], v[32:33], v[18:19]
	v_add_f64 v[48:49], v[44:45], v[46:47]
	;; [unrolled: 4-line block ×3, first 2 shown]
	v_add_f64 v[69:70], v[40:41], -v[14:15]
	v_add_f64 v[89:90], v[50:51], -v[16:17]
	;; [unrolled: 1-line block ×6, first 2 shown]
	v_add_f64 v[111:112], v[18:19], v[10:11]
	v_add_f64 v[115:116], v[32:33], v[36:37]
	v_add_f64 v[117:118], v[18:19], -v[10:11]
	v_add_f64 v[119:120], v[32:33], -v[36:37]
	v_add_f64 v[42:43], v[42:43], v[44:45]
	v_add_f64 v[44:45], v[48:49], v[46:47]
	v_add_f64 v[10:11], v[10:11], -v[26:27]
	v_add_f64 v[36:37], v[36:37], -v[28:29]
	v_add_f64 v[18:19], v[26:27], -v[18:19]
	v_add_f64 v[32:33], v[28:29], -v[32:33]
	v_add_f64 v[26:27], v[111:112], v[26:27]
	v_add_f64 v[28:29], v[115:116], v[28:29]
	;; [unrolled: 1-line block ×4, first 2 shown]
	v_mul_f64 v[14:15], v[14:15], s[4:5]
	v_mul_f64 v[16:17], v[16:17], s[4:5]
	;; [unrolled: 1-line block ×8, first 2 shown]
	v_fma_f64 v[42:43], v[42:43], s[14:15], v[6:7]
	v_fma_f64 v[44:45], v[44:45], s[14:15], v[48:49]
	;; [unrolled: 1-line block ×4, first 2 shown]
	v_fma_f64 v[46:47], v[69:70], s[16:17], -v[46:47]
	v_fma_f64 v[111:112], v[89:90], s[16:17], -v[111:112]
	v_fma_f64 v[14:15], v[69:70], s[18:19], -v[14:15]
	v_fma_f64 v[16:17], v[89:90], s[18:19], -v[16:17]
	v_fma_f64 v[69:70], v[18:19], s[20:21], v[113:114]
	v_fma_f64 v[89:90], v[32:33], s[20:21], v[115:116]
	v_fma_f64 v[10:11], v[10:11], s[6:7], -v[113:114]
	v_fma_f64 v[18:19], v[18:19], s[24:25], -v[117:118]
	;; [unrolled: 1-line block ×4, first 2 shown]
	v_add_f64 v[111:112], v[111:112], v[44:45]
	v_add_f64 v[14:15], v[14:15], v[42:43]
	;; [unrolled: 1-line block ×4, first 2 shown]
	v_fma_f64 v[10:11], v[26:27], s[22:23], v[10:11]
	v_fma_f64 v[18:19], v[26:27], s[22:23], v[18:19]
	;; [unrolled: 1-line block ×3, first 2 shown]
	v_add_f64 v[65:66], v[73:74], -v[77:78]
	v_add_f64 v[40:41], v[40:41], v[42:43]
	v_add_f64 v[50:51], v[50:51], v[44:45]
	;; [unrolled: 1-line block ×3, first 2 shown]
	v_fma_f64 v[42:43], v[28:29], s[22:23], v[89:90]
	v_fma_f64 v[44:45], v[26:27], s[22:23], v[69:70]
	;; [unrolled: 1-line block ×3, first 2 shown]
	v_add_f64 v[26:27], v[71:72], -v[75:76]
	v_add_f64 v[69:70], v[77:78], v[73:74]
	v_add_f64 v[73:74], v[32:33], v[14:15]
	v_add_f64 v[75:76], v[16:17], -v[18:19]
	v_add_f64 v[89:90], v[10:11], v[111:112]
	v_add_f64 v[10:11], v[111:112], -v[10:11]
	v_add_f64 v[14:15], v[14:15], -v[32:33]
	v_add_f64 v[111:112], v[18:19], v[16:17]
	v_add_f64 v[16:17], v[30:31], v[8:9]
	;; [unrolled: 1-line block ×3, first 2 shown]
	v_add_f64 v[8:9], v[30:31], -v[8:9]
	v_add_f64 v[30:31], v[12:13], v[38:39]
	v_add_f64 v[32:33], v[54:55], v[61:62]
	v_add_f64 v[77:78], v[46:47], -v[28:29]
	v_add_f64 v[28:29], v[28:29], v[46:47]
	v_add_f64 v[24:25], v[52:53], -v[24:25]
	v_add_f64 v[12:13], v[12:13], -v[38:39]
	;; [unrolled: 1-line block ×3, first 2 shown]
	v_add_f64 v[46:47], v[34:35], v[20:21]
	v_add_f64 v[52:53], v[57:58], v[59:60]
	v_add_f64 v[20:21], v[20:21], -v[34:35]
	v_add_f64 v[34:35], v[59:60], -v[57:58]
	v_add_f64 v[54:55], v[30:31], v[16:17]
	v_add_f64 v[57:58], v[32:33], v[18:19]
	v_add_f64 v[59:60], v[30:31], -v[16:17]
	v_add_f64 v[61:62], v[32:33], -v[18:19]
	;; [unrolled: 1-line block ×6, first 2 shown]
	v_add_f64 v[113:114], v[20:21], v[12:13]
	v_add_f64 v[115:116], v[34:35], v[38:39]
	v_add_f64 v[117:118], v[20:21], -v[12:13]
	v_add_f64 v[119:120], v[34:35], -v[38:39]
	v_add_f64 v[46:47], v[46:47], v[54:55]
	v_add_f64 v[52:53], v[52:53], v[57:58]
	v_add_f64 v[12:13], v[12:13], -v[8:9]
	v_add_f64 v[38:39], v[38:39], -v[24:25]
	;; [unrolled: 1-line block ×4, first 2 shown]
	v_add_f64 v[8:9], v[113:114], v[8:9]
	v_add_f64 v[24:25], v[115:116], v[24:25]
	;; [unrolled: 1-line block ×4, first 2 shown]
	v_mul_f64 v[16:17], v[16:17], s[4:5]
	v_mul_f64 v[18:19], v[18:19], s[4:5]
	;; [unrolled: 1-line block ×8, first 2 shown]
	v_fma_f64 v[46:47], v[46:47], s[14:15], v[0:1]
	v_fma_f64 v[52:53], v[52:53], s[14:15], v[54:55]
	;; [unrolled: 1-line block ×4, first 2 shown]
	v_fma_f64 v[57:58], v[59:60], s[16:17], -v[57:58]
	v_fma_f64 v[107:108], v[61:62], s[16:17], -v[107:108]
	;; [unrolled: 1-line block ×4, first 2 shown]
	v_fma_f64 v[59:60], v[20:21], s[20:21], v[113:114]
	v_fma_f64 v[61:62], v[34:35], s[20:21], v[115:116]
	v_fma_f64 v[12:13], v[12:13], s[6:7], -v[113:114]
	v_fma_f64 v[38:39], v[38:39], s[6:7], -v[115:116]
	;; [unrolled: 1-line block ×4, first 2 shown]
	v_add_f64 v[30:31], v[30:31], v[46:47]
	v_add_f64 v[32:33], v[32:33], v[52:53]
	;; [unrolled: 1-line block ×6, first 2 shown]
	v_fma_f64 v[46:47], v[24:25], s[22:23], v[61:62]
	v_fma_f64 v[52:53], v[8:9], s[22:23], v[59:60]
	;; [unrolled: 1-line block ×6, first 2 shown]
	v_add_f64 v[36:37], v[42:43], v[40:41]
	v_add_f64 v[12:13], v[40:41], -v[42:43]
	v_add_f64 v[38:39], v[46:47], v[30:31]
	ds_write2_b64 v93, v[4:5], v[63:64] offset1:91
	ds_write2_b64 v94, v[83:84], v[87:88] offset0:54 offset1:145
	ds_write2_b64 v99, v[22:23], v[2:3] offset0:108 offset1:199
	;; [unrolled: 1-line block ×6, first 2 shown]
	v_add_f64 v[40:41], v[34:35], v[16:17]
	v_add_f64 v[42:43], v[57:58], -v[24:25]
	v_add_f64 v[113:114], v[8:9], v[107:108]
	v_add_f64 v[24:25], v[24:25], v[57:58]
	v_add_f64 v[57:58], v[107:108], -v[8:9]
	v_add_f64 v[8:9], v[16:17], -v[34:35]
	;; [unrolled: 1-line block ×3, first 2 shown]
	v_lshl_add_u32 v6, v91, 3, 0
	v_add_u32_e32 v7, 0x2400, v6
	v_add_u32_e32 v63, 0x2c00, v6
	v_add_u32_e32 v64, 0x3000, v6
	v_add_f64 v[59:60], v[32:33], -v[52:53]
	v_add_f64 v[61:62], v[18:19], -v[20:21]
	v_add_f64 v[107:108], v[20:21], v[18:19]
	v_add_f64 v[52:53], v[52:53], v[32:33]
	ds_write2_b64 v7, v[0:1], v[38:39] offset0:122 offset1:213
	ds_write2_b64 v63, v[40:41], v[42:43] offset0:48 offset1:139
	ds_write2_b64 v64, v[24:25], v[8:9] offset0:102 offset1:193
	ds_write_b64 v6, v[16:17] offset:14560
	s_waitcnt lgkmcnt(0)
	s_barrier
	ds_read2_b64 v[12:15], v93 offset1:91
	ds_read2_b64 v[16:19], v95 offset0:34 offset1:125
	ds_read2_b64 v[20:23], v101 offset0:122 offset1:213
	;; [unrolled: 1-line block ×6, first 2 shown]
	v_lshl_add_u32 v8, v106, 3, 0
	v_add_u32_e32 v0, 0x800, v8
	v_add_f64 v[71:72], v[50:51], -v[44:45]
	v_add_f64 v[50:51], v[44:45], v[50:51]
	ds_read2_b64 v[36:39], v0 offset0:108 offset1:199
	ds_read2_b64 v[44:47], v100 offset0:102 offset1:193
	;; [unrolled: 1-line block ×3, first 2 shown]
	ds_read_b64 v[4:5], v93 offset:14560
	s_waitcnt lgkmcnt(0)
	s_barrier
	ds_write2_b64 v93, v[79:80], v[65:66] offset1:91
	ds_write2_b64 v94, v[85:86], v[109:110] offset0:54 offset1:145
	ds_write2_b64 v99, v[81:82], v[67:68] offset0:108 offset1:199
	;; [unrolled: 1-line block ×9, first 2 shown]
	ds_write_b64 v6, v[52:53] offset:14560
	s_waitcnt lgkmcnt(0)
	s_barrier
	s_and_saveexec_b64 s[0:1], vcc
	s_cbranch_execz .LBB0_19
; %bb.18:
	v_add_u32_e32 v50, 0x222, v106
	v_lshlrev_b32_e32 v54, 1, v50
	v_mov_b32_e32 v55, 0
	v_lshlrev_b64 v[6:7], 4, v[54:55]
	v_mov_b32_e32 v91, s9
	v_add_co_u32_e32 v9, vcc, s8, v6
	v_addc_co_u32_e32 v10, vcc, v91, v7, vcc
	s_movk_i32 s7, 0x2700
	v_add_co_u32_e32 v6, vcc, s7, v9
	s_movk_i32 s6, 0x2000
	v_addc_co_u32_e32 v7, vcc, 0, v10, vcc
	v_add_co_u32_e32 v9, vcc, s6, v9
	v_addc_co_u32_e32 v10, vcc, 0, v10, vcc
	global_load_dwordx4 v[57:60], v[9:10], off offset:1792
	global_load_dwordx4 v[61:64], v[6:7], off offset:16
	v_add_u32_e32 v51, 0x1c7, v106
	v_lshlrev_b32_e32 v54, 1, v51
	v_lshlrev_b64 v[6:7], 4, v[54:55]
	v_add_u32_e32 v52, 0x16c, v106
	v_add_co_u32_e32 v9, vcc, s8, v6
	v_addc_co_u32_e32 v10, vcc, v91, v7, vcc
	v_add_co_u32_e32 v6, vcc, s7, v9
	v_addc_co_u32_e32 v7, vcc, 0, v10, vcc
	;; [unrolled: 2-line block ×3, first 2 shown]
	global_load_dwordx4 v[65:68], v[9:10], off offset:1792
	global_load_dwordx4 v[69:72], v[6:7], off offset:16
	v_lshlrev_b32_e32 v54, 1, v52
	v_lshlrev_b64 v[6:7], 4, v[54:55]
	v_add_u32_e32 v53, 0x111, v106
	v_add_co_u32_e32 v9, vcc, s8, v6
	v_addc_co_u32_e32 v10, vcc, v91, v7, vcc
	v_add_co_u32_e32 v6, vcc, s7, v9
	v_addc_co_u32_e32 v7, vcc, 0, v10, vcc
	;; [unrolled: 2-line block ×3, first 2 shown]
	global_load_dwordx4 v[73:76], v[9:10], off offset:1792
	global_load_dwordx4 v[77:80], v[6:7], off offset:16
	v_add_u32_e32 v9, 0x1000, v93
	v_add_u32_e32 v10, 0x2000, v93
	ds_read_b64 v[6:7], v93 offset:14560
	ds_read2_b64 v[81:84], v9 offset0:34 offset1:125
	ds_read2_b64 v[85:88], v10 offset0:68 offset1:159
	v_lshlrev_b32_e32 v54, 1, v53
	v_lshlrev_b64 v[9:10], 4, v[54:55]
	v_add_u32_e32 v11, 0x3000, v93
	ds_read2_b64 v[94:97], v11 offset0:102 offset1:193
	v_lshlrev_b32_e32 v54, 1, v56
	v_add_co_u32_e32 v11, vcc, s8, v9
	v_lshlrev_b64 v[48:49], 4, v[54:55]
	v_addc_co_u32_e32 v54, vcc, v91, v10, vcc
	v_add_co_u32_e32 v9, vcc, s7, v11
	v_addc_co_u32_e32 v10, vcc, 0, v54, vcc
	v_add_co_u32_e32 v100, vcc, s6, v11
	;; [unrolled: 2-line block ×3, first 2 shown]
	s_mov_b32 s0, 0xe8584caa
	s_mov_b32 s1, 0xbfebb67a
	;; [unrolled: 1-line block ×4, first 2 shown]
	v_add_u32_e32 v8, 0x800, v8
	s_waitcnt vmcnt(5)
	v_mul_f64 v[89:90], v[2:3], v[59:60]
	s_waitcnt vmcnt(4)
	v_mul_f64 v[98:99], v[4:5], v[63:64]
	s_waitcnt lgkmcnt(1)
	v_mul_f64 v[59:60], v[87:88], v[59:60]
	v_mul_f64 v[63:64], v[6:7], v[63:64]
	v_fma_f64 v[87:88], v[87:88], v[57:58], -v[89:90]
	v_fma_f64 v[6:7], v[6:7], v[61:62], -v[98:99]
	v_fma_f64 v[89:90], v[2:3], v[57:58], v[59:60]
	v_fma_f64 v[102:103], v[4:5], v[61:62], v[63:64]
	v_addc_co_u32_e32 v98, vcc, v91, v49, vcc
	s_waitcnt vmcnt(3)
	v_mul_f64 v[2:3], v[0:1], v[67:68]
	s_waitcnt vmcnt(2)
	v_mul_f64 v[4:5], v[46:47], v[71:72]
	v_add_f64 v[48:49], v[87:88], v[6:7]
	v_add_f64 v[57:58], v[89:90], v[102:103]
	v_mul_f64 v[67:68], v[85:86], v[67:68]
	s_waitcnt lgkmcnt(0)
	v_mul_f64 v[71:72], v[96:97], v[71:72]
	v_fma_f64 v[107:108], v[85:86], v[65:66], -v[2:3]
	v_fma_f64 v[109:110], v[96:97], v[69:70], -v[4:5]
	v_add_f64 v[4:5], v[89:90], -v[102:103]
	v_add_f64 v[2:3], v[81:82], v[87:88]
	v_fma_f64 v[48:49], v[48:49], -0.5, v[81:82]
	v_add_f64 v[85:86], v[87:88], -v[6:7]
	v_fma_f64 v[81:82], v[57:58], -0.5, v[16:17]
	global_load_dwordx4 v[57:60], v[100:101], off offset:1792
	global_load_dwordx4 v[61:64], v[9:10], off offset:16
	v_fma_f64 v[111:112], v[0:1], v[65:66], v[67:68]
	v_add_u32_e32 v9, 0x1800, v93
	v_fma_f64 v[113:114], v[46:47], v[69:70], v[71:72]
	v_add_f64 v[10:11], v[2:3], v[6:7]
	v_fma_f64 v[2:3], v[4:5], s[0:1], v[48:49]
	v_fma_f64 v[6:7], v[4:5], s[4:5], v[48:49]
	v_add_co_u32_e32 v48, vcc, s7, v54
	v_addc_co_u32_e32 v49, vcc, 0, v98, vcc
	v_fma_f64 v[0:1], v[85:86], s[4:5], v[81:82]
	v_fma_f64 v[4:5], v[85:86], s[0:1], v[81:82]
	v_add_co_u32_e32 v81, vcc, s6, v54
	v_addc_co_u32_e32 v82, vcc, 0, v98, vcc
	global_load_dwordx4 v[65:68], v[81:82], off offset:1792
	global_load_dwordx4 v[85:88], v[48:49], off offset:16
	ds_read2_b64 v[69:72], v9 offset0:142 offset1:233
	ds_read2_b64 v[46:49], v8 offset0:108 offset1:199
	s_waitcnt vmcnt(5)
	v_mul_f64 v[8:9], v[42:43], v[75:76]
	v_lshlrev_b32_e32 v54, 1, v92
	s_waitcnt vmcnt(4)
	v_mul_f64 v[81:82], v[44:45], v[79:80]
	s_waitcnt lgkmcnt(1)
	v_mul_f64 v[75:76], v[71:72], v[75:76]
	v_add_f64 v[96:97], v[107:108], v[109:110]
	v_add_f64 v[16:17], v[16:17], v[89:90]
	s_waitcnt lgkmcnt(0)
	v_add_f64 v[117:118], v[48:49], v[107:108]
	v_add_f64 v[115:116], v[111:112], -v[113:114]
	v_fma_f64 v[119:120], v[71:72], v[73:74], -v[8:9]
	v_mul_f64 v[8:9], v[94:95], v[79:80]
	v_fma_f64 v[121:122], v[94:95], v[77:78], -v[81:82]
	v_fma_f64 v[123:124], v[42:43], v[73:74], v[75:76]
	v_lshlrev_b64 v[42:43], 4, v[54:55]
	v_fma_f64 v[89:90], v[96:97], -0.5, v[48:49]
	v_add_co_u32_e32 v54, vcc, s8, v42
	v_addc_co_u32_e32 v71, vcc, v91, v43, vcc
	v_add_co_u32_e32 v42, vcc, s7, v54
	v_addc_co_u32_e32 v43, vcc, 0, v71, vcc
	v_add_co_u32_e32 v75, vcc, s6, v54
	v_addc_co_u32_e32 v76, vcc, 0, v71, vcc
	global_load_dwordx4 v[71:74], v[75:76], off offset:1792
	global_load_dwordx4 v[79:82], v[42:43], off offset:16
	v_lshlrev_b32_e32 v54, 1, v106
	v_lshlrev_b64 v[42:43], 4, v[54:55]
	v_add_f64 v[48:49], v[111:112], v[113:114]
	v_add_co_u32_e32 v54, vcc, s8, v42
	v_addc_co_u32_e32 v55, vcc, v91, v43, vcc
	v_add_co_u32_e32 v42, vcc, s7, v54
	v_addc_co_u32_e32 v43, vcc, 0, v55, vcc
	;; [unrolled: 2-line block ×3, first 2 shown]
	global_load_dwordx4 v[94:97], v[54:55], off offset:1792
	global_load_dwordx4 v[98:101], v[42:43], off offset:16
	v_fma_f64 v[54:55], v[44:45], v[77:78], v[8:9]
	v_add_f64 v[8:9], v[16:17], v[102:103]
	v_add_f64 v[16:17], v[119:120], v[121:122]
	v_add_f64 v[75:76], v[107:108], -v[109:110]
	v_fma_f64 v[102:103], v[48:49], -0.5, v[38:39]
	v_add_f64 v[38:39], v[38:39], v[111:112]
	v_fma_f64 v[44:45], v[115:116], s[0:1], v[89:90]
	v_fma_f64 v[48:49], v[115:116], s[4:5], v[89:90]
	v_add_f64 v[107:108], v[123:124], -v[54:55]
	v_add_f64 v[77:78], v[117:118], v[109:110]
	v_fma_f64 v[16:17], v[16:17], -0.5, v[46:47]
	v_add_f64 v[89:90], v[123:124], v[54:55]
	v_fma_f64 v[42:43], v[75:76], s[4:5], v[102:103]
	v_add_f64 v[111:112], v[46:47], v[119:120]
	v_fma_f64 v[46:47], v[75:76], s[0:1], v[102:103]
	v_add_f64 v[102:103], v[119:120], -v[121:122]
	v_add_f64 v[75:76], v[38:39], v[113:114]
	s_waitcnt vmcnt(7)
	v_mul_f64 v[119:120], v[40:41], v[59:60]
	v_fma_f64 v[109:110], v[107:108], s[0:1], v[16:17]
	v_fma_f64 v[113:114], v[107:108], s[4:5], v[16:17]
	v_add_u32_e32 v16, 0x2c00, v93
	ds_read2_b64 v[115:118], v16 offset0:48 offset1:139
	s_waitcnt vmcnt(6)
	v_mul_f64 v[16:17], v[34:35], v[63:64]
	v_mul_f64 v[59:60], v[69:70], v[59:60]
	v_fma_f64 v[89:90], v[89:90], -0.5, v[36:37]
	v_fma_f64 v[125:126], v[69:70], v[57:58], -v[119:120]
	s_waitcnt lgkmcnt(0)
	v_mul_f64 v[63:64], v[117:118], v[63:64]
	v_add_u32_e32 v91, 0x1400, v93
	v_add_f64 v[38:39], v[111:112], v[121:122]
	ds_read2_b64 v[119:122], v91 offset0:88 offset1:179
	v_fma_f64 v[16:17], v[117:118], v[61:62], -v[16:17]
	v_fma_f64 v[40:41], v[40:41], v[57:58], v[59:60]
	v_fma_f64 v[107:108], v[102:103], s[4:5], v[89:90]
	s_waitcnt vmcnt(5)
	v_mul_f64 v[69:70], v[30:31], v[67:68]
	s_waitcnt vmcnt(4)
	v_mul_f64 v[127:128], v[32:33], v[87:88]
	v_fma_f64 v[61:62], v[34:35], v[61:62], v[63:64]
	v_fma_f64 v[111:112], v[102:103], s[0:1], v[89:90]
	s_waitcnt lgkmcnt(0)
	v_mul_f64 v[57:58], v[121:122], v[67:68]
	v_mul_f64 v[59:60], v[115:116], v[87:88]
	v_add_f64 v[63:64], v[125:126], v[16:17]
	v_add_u32_e32 v34, 0x400, v93
	v_fma_f64 v[69:70], v[121:122], v[65:66], -v[69:70]
	v_fma_f64 v[89:90], v[115:116], v[85:86], -v[127:128]
	v_add_f64 v[87:88], v[40:41], v[61:62]
	v_add_f64 v[67:68], v[36:37], v[123:124]
	v_fma_f64 v[115:116], v[30:31], v[65:66], v[57:58]
	v_fma_f64 v[117:118], v[32:33], v[85:86], v[59:60]
	ds_read2_b64 v[34:37], v34 offset0:54 offset1:145
	v_add_f64 v[57:58], v[40:41], -v[61:62]
	v_add_f64 v[65:66], v[125:126], -v[16:17]
	v_add_f64 v[102:103], v[69:70], v[89:90]
	v_fma_f64 v[85:86], v[87:88], -0.5, v[26:27]
	s_waitcnt lgkmcnt(0)
	v_fma_f64 v[30:31], v[63:64], -0.5, v[36:37]
	v_add_f64 v[26:27], v[26:27], v[40:41]
	v_add_f64 v[87:88], v[115:116], -v[117:118]
	v_add_f64 v[63:64], v[36:37], v[125:126]
	v_add_f64 v[36:37], v[67:68], v[54:55]
	v_fma_f64 v[40:41], v[102:103], -0.5, v[34:35]
	v_add_f64 v[34:35], v[34:35], v[69:70]
	v_fma_f64 v[32:33], v[57:58], s[0:1], v[30:31]
	v_fma_f64 v[59:60], v[57:58], s[4:5], v[30:31]
	;; [unrolled: 1-line block ×4, first 2 shown]
	s_waitcnt vmcnt(3)
	v_mul_f64 v[54:55], v[28:29], v[73:74]
	s_waitcnt vmcnt(2)
	v_mul_f64 v[65:66], v[22:23], v[81:82]
	v_add_f64 v[61:62], v[26:27], v[61:62]
	v_fma_f64 v[67:68], v[87:88], s[0:1], v[40:41]
	v_fma_f64 v[26:27], v[87:88], s[4:5], v[40:41]
	v_add_u32_e32 v40, 0x2400, v93
	ds_read2_b64 v[85:88], v40 offset0:122 offset1:213
	v_add_f64 v[63:64], v[63:64], v[16:17]
	v_add_f64 v[16:17], v[115:116], v[117:118]
	v_add_f64 v[40:41], v[69:70], -v[89:90]
	v_fma_f64 v[54:55], v[119:120], v[71:72], -v[54:55]
	s_waitcnt lgkmcnt(0)
	v_fma_f64 v[69:70], v[87:88], v[79:80], -v[65:66]
	v_mul_f64 v[102:103], v[119:120], v[73:74]
	v_mul_f64 v[81:82], v[87:88], v[81:82]
	s_waitcnt vmcnt(1)
	v_mul_f64 v[119:120], v[18:19], v[96:97]
	s_waitcnt vmcnt(0)
	v_mul_f64 v[121:122], v[20:21], v[100:101]
	v_fma_f64 v[16:17], v[16:17], -0.5, v[24:25]
	v_add_f64 v[73:74], v[34:35], v[89:90]
	ds_read2_b64 v[87:90], v93 offset1:91
	v_add_f64 v[34:35], v[54:55], v[69:70]
	v_fma_f64 v[28:29], v[28:29], v[71:72], v[102:103]
	v_fma_f64 v[22:23], v[22:23], v[79:80], v[81:82]
	v_mul_f64 v[71:72], v[83:84], v[96:97]
	v_mul_f64 v[79:80], v[85:86], v[100:101]
	v_fma_f64 v[65:66], v[40:41], s[4:5], v[16:17]
	v_fma_f64 v[102:103], v[83:84], v[94:95], -v[119:120]
	v_fma_f64 v[119:120], v[85:86], v[98:99], -v[121:122]
	v_add_f64 v[81:82], v[24:25], v[115:116]
	v_fma_f64 v[24:25], v[40:41], s[0:1], v[16:17]
	s_waitcnt lgkmcnt(0)
	v_fma_f64 v[34:35], v[34:35], -0.5, v[89:90]
	v_add_f64 v[16:17], v[28:29], v[22:23]
	v_add_f64 v[40:41], v[28:29], -v[22:23]
	v_fma_f64 v[93:94], v[18:19], v[94:95], v[71:72]
	v_fma_f64 v[97:98], v[20:21], v[98:99], v[79:80]
	v_add_f64 v[83:84], v[102:103], v[119:120]
	v_add_f64 v[18:19], v[89:90], v[54:55]
	v_add_f64 v[54:55], v[54:55], -v[69:70]
	v_add_f64 v[28:29], v[14:15], v[28:29]
	v_fma_f64 v[79:80], v[16:17], -0.5, v[14:15]
	v_fma_f64 v[16:17], v[40:41], s[0:1], v[34:35]
	v_fma_f64 v[20:21], v[40:41], s[4:5], v[34:35]
	v_add_f64 v[34:35], v[93:94], v[97:98]
	v_add_f64 v[71:72], v[81:82], v[117:118]
	v_fma_f64 v[83:84], v[83:84], -0.5, v[87:88]
	v_add_f64 v[89:90], v[93:94], -v[97:98]
	v_add_f64 v[81:82], v[18:19], v[69:70]
	v_fma_f64 v[14:15], v[54:55], s[4:5], v[79:80]
	v_fma_f64 v[18:19], v[54:55], s[0:1], v[79:80]
	v_add_f64 v[79:80], v[28:29], v[22:23]
	v_add_f64 v[22:23], v[87:88], v[102:103]
	v_add_f64 v[28:29], v[102:103], -v[119:120]
	v_fma_f64 v[34:35], v[34:35], -0.5, v[12:13]
	v_add_f64 v[12:13], v[12:13], v[93:94]
	v_mad_u64_u32 v[40:41], s[6:7], s2, v106, 0
	v_fma_f64 v[85:86], v[89:90], s[0:1], v[83:84]
	v_fma_f64 v[89:90], v[89:90], s[4:5], v[83:84]
	v_add_f64 v[95:96], v[22:23], v[119:120]
	v_mov_b32_e32 v22, v41
	v_fma_f64 v[83:84], v[28:29], s[4:5], v[34:35]
	v_fma_f64 v[87:88], v[28:29], s[0:1], v[34:35]
	v_add_u32_e32 v28, 0x27d, v106
	v_mad_u64_u32 v[22:23], s[6:7], s3, v106, v[22:23]
	v_add_f64 v[93:94], v[12:13], v[97:98]
	v_mad_u64_u32 v[12:13], s[0:1], s2, v28, 0
	v_mov_b32_e32 v41, v22
	v_mov_b32_e32 v22, s13
	v_add_co_u32_e32 v54, vcc, s12, v104
	v_mad_u64_u32 v[28:29], s[0:1], s3, v28, v[13:14]
	v_addc_co_u32_e32 v55, vcc, v22, v105, vcc
	v_lshlrev_b64 v[22:23], 4, v[40:41]
	v_mov_b32_e32 v13, v28
	v_add_co_u32_e32 v22, vcc, v54, v22
	v_addc_co_u32_e32 v23, vcc, v55, v23, vcc
	v_add_u32_e32 v28, 0x4fa, v106
	global_store_dwordx4 v[22:23], v[93:96], off
	v_lshlrev_b64 v[12:13], 4, v[12:13]
	v_mad_u64_u32 v[22:23], s[0:1], s2, v28, 0
	v_add_co_u32_e32 v12, vcc, v54, v12
	v_addc_co_u32_e32 v13, vcc, v55, v13, vcc
	global_store_dwordx4 v[12:13], v[87:90], off
	v_mov_b32_e32 v12, v23
	v_mad_u64_u32 v[12:13], s[0:1], s3, v28, v[12:13]
	v_mad_u64_u32 v[28:29], s[0:1], s2, v92, 0
	v_mov_b32_e32 v23, v12
	v_lshlrev_b64 v[12:13], 4, v[22:23]
	v_mov_b32_e32 v22, v29
	v_mad_u64_u32 v[22:23], s[4:5], s3, v92, v[22:23]
	v_add_co_u32_e32 v12, vcc, v54, v12
	v_addc_co_u32_e32 v13, vcc, v55, v13, vcc
	v_mov_b32_e32 v29, v22
	global_store_dwordx4 v[12:13], v[83:86], off
	v_lshlrev_b64 v[12:13], 4, v[28:29]
	v_add_u32_e32 v28, 0x2d8, v106
	v_mad_u64_u32 v[22:23], s[4:5], s2, v28, 0
	v_add_co_u32_e32 v12, vcc, v54, v12
	v_mad_u64_u32 v[28:29], s[4:5], s3, v28, v[23:24]
	v_add_u32_e32 v29, 0x555, v106
	v_addc_co_u32_e32 v13, vcc, v55, v13, vcc
	v_mad_u64_u32 v[34:35], s[4:5], s2, v29, 0
	v_mov_b32_e32 v23, v28
	global_store_dwordx4 v[12:13], v[79:82], off
	v_lshlrev_b64 v[12:13], 4, v[22:23]
	v_mov_b32_e32 v22, v35
	v_add_co_u32_e32 v12, vcc, v54, v12
	v_addc_co_u32_e32 v13, vcc, v55, v13, vcc
	v_mad_u64_u32 v[22:23], s[4:5], s3, v29, v[22:23]
	global_store_dwordx4 v[12:13], v[18:21], off
	s_mov_b32 s1, 0x9b876f53
	v_mad_u64_u32 v[18:19], s[4:5], s2, v56, 0
	v_mov_b32_e32 v35, v22
	v_add_u32_e32 v22, 0x333, v106
	v_mad_u64_u32 v[19:20], s[4:5], s3, v56, v[19:20]
	v_lshlrev_b64 v[12:13], 4, v[34:35]
	v_mad_u64_u32 v[20:21], s[4:5], s2, v22, 0
	v_add_co_u32_e32 v12, vcc, v54, v12
	v_addc_co_u32_e32 v13, vcc, v55, v13, vcc
	global_store_dwordx4 v[12:13], v[14:17], off
	v_lshlrev_b64 v[12:13], 4, v[18:19]
	v_mov_b32_e32 v14, v21
	v_mad_u64_u32 v[14:15], s[4:5], s3, v22, v[14:15]
	v_add_u32_e32 v16, 0x5b0, v106
	v_add_co_u32_e32 v12, vcc, v54, v12
	v_mov_b32_e32 v21, v14
	v_mad_u64_u32 v[14:15], s[4:5], s2, v16, 0
	v_addc_co_u32_e32 v13, vcc, v55, v13, vcc
	v_mad_u64_u32 v[15:16], s[4:5], s3, v16, v[15:16]
	global_store_dwordx4 v[12:13], v[71:74], off
	v_lshlrev_b64 v[12:13], 4, v[20:21]
	v_mad_u64_u32 v[16:17], s[4:5], s2, v53, 0
	v_add_co_u32_e32 v12, vcc, v54, v12
	v_addc_co_u32_e32 v13, vcc, v55, v13, vcc
	global_store_dwordx4 v[12:13], v[24:27], off
	v_lshlrev_b64 v[12:13], 4, v[14:15]
	v_mov_b32_e32 v14, v17
	v_mad_u64_u32 v[14:15], s[4:5], s3, v53, v[14:15]
	v_add_co_u32_e32 v12, vcc, v54, v12
	v_addc_co_u32_e32 v13, vcc, v55, v13, vcc
	v_mov_b32_e32 v17, v14
	global_store_dwordx4 v[12:13], v[65:68], off
	v_lshlrev_b64 v[12:13], 4, v[16:17]
	v_add_u32_e32 v16, 0x38e, v106
	v_mad_u64_u32 v[14:15], s[4:5], s2, v16, 0
	v_add_u32_e32 v18, 0x60b, v106
	v_add_co_u32_e32 v12, vcc, v54, v12
	v_mad_u64_u32 v[15:16], s[4:5], s3, v16, v[15:16]
	v_mad_u64_u32 v[16:17], s[4:5], s2, v18, 0
	v_addc_co_u32_e32 v13, vcc, v55, v13, vcc
	global_store_dwordx4 v[12:13], v[61:64], off
	v_lshlrev_b64 v[12:13], 4, v[14:15]
	v_mov_b32_e32 v14, v17
	v_mad_u64_u32 v[14:15], s[4:5], s3, v18, v[14:15]
	v_add_co_u32_e32 v12, vcc, v54, v12
	v_mov_b32_e32 v17, v14
	v_mad_u64_u32 v[14:15], s[4:5], s2, v52, 0
	v_addc_co_u32_e32 v13, vcc, v55, v13, vcc
	global_store_dwordx4 v[12:13], v[57:60], off
	v_lshlrev_b64 v[12:13], 4, v[16:17]
	v_mad_u64_u32 v[15:16], s[4:5], s3, v52, v[15:16]
	v_add_u32_e32 v18, 0x3e9, v106
	v_mad_u64_u32 v[16:17], s[4:5], s2, v18, 0
	v_add_co_u32_e32 v12, vcc, v54, v12
	v_addc_co_u32_e32 v13, vcc, v55, v13, vcc
	global_store_dwordx4 v[12:13], v[30:33], off
	v_lshlrev_b64 v[12:13], 4, v[14:15]
	v_mov_b32_e32 v14, v17
	v_mad_u64_u32 v[14:15], s[4:5], s3, v18, v[14:15]
	v_add_co_u32_e32 v12, vcc, v54, v12
	v_addc_co_u32_e32 v13, vcc, v55, v13, vcc
	v_mov_b32_e32 v17, v14
	global_store_dwordx4 v[12:13], v[36:39], off
	v_lshlrev_b64 v[12:13], 4, v[16:17]
	v_add_u32_e32 v16, 0x666, v106
	v_mad_u64_u32 v[14:15], s[4:5], s2, v16, 0
	v_add_co_u32_e32 v12, vcc, v54, v12
	v_mad_u64_u32 v[15:16], s[4:5], s3, v16, v[15:16]
	v_mul_hi_u32 v16, v51, s1
	v_addc_co_u32_e32 v13, vcc, v55, v13, vcc
	global_store_dwordx4 v[12:13], v[111:114], off
	v_lshlrev_b64 v[12:13], 4, v[14:15]
	v_sub_u32_e32 v14, v51, v16
	v_lshrrev_b32_e32 v14, 1, v14
	v_add_u32_e32 v14, v14, v16
	s_movk_i32 s0, 0x4fa
	v_lshrrev_b32_e32 v14, 9, v14
	v_mad_u32_u24 v18, v14, s0, v51
	v_mad_u64_u32 v[14:15], s[4:5], s2, v18, 0
	v_add_u32_e32 v19, 0x27d, v18
	v_add_co_u32_e32 v12, vcc, v54, v12
	v_mad_u64_u32 v[15:16], s[4:5], s3, v18, v[15:16]
	v_mad_u64_u32 v[16:17], s[4:5], s2, v19, 0
	v_addc_co_u32_e32 v13, vcc, v55, v13, vcc
	global_store_dwordx4 v[12:13], v[107:110], off
	v_lshlrev_b64 v[12:13], 4, v[14:15]
	v_mov_b32_e32 v14, v17
	v_mad_u64_u32 v[14:15], s[4:5], s3, v19, v[14:15]
	v_add_co_u32_e32 v12, vcc, v54, v12
	v_addc_co_u32_e32 v13, vcc, v55, v13, vcc
	v_mov_b32_e32 v17, v14
	global_store_dwordx4 v[12:13], v[75:78], off
	v_lshlrev_b64 v[12:13], 4, v[16:17]
	v_add_u32_e32 v16, 0x4fa, v18
	v_mad_u64_u32 v[14:15], s[4:5], s2, v16, 0
	v_mul_hi_u32 v17, v50, s1
	v_add_co_u32_e32 v12, vcc, v54, v12
	v_mad_u64_u32 v[15:16], s[4:5], s3, v16, v[15:16]
	v_sub_u32_e32 v16, v50, v17
	v_lshrrev_b32_e32 v16, 1, v16
	v_add_u32_e32 v16, v16, v17
	v_lshrrev_b32_e32 v16, 9, v16
	v_mad_u32_u24 v18, v16, s0, v50
	v_mad_u64_u32 v[16:17], s[0:1], s2, v18, 0
	v_addc_co_u32_e32 v13, vcc, v55, v13, vcc
	global_store_dwordx4 v[12:13], v[46:49], off
	v_lshlrev_b64 v[12:13], 4, v[14:15]
	v_mov_b32_e32 v14, v17
	v_mad_u64_u32 v[14:15], s[0:1], s3, v18, v[14:15]
	v_add_co_u32_e32 v12, vcc, v54, v12
	v_addc_co_u32_e32 v13, vcc, v55, v13, vcc
	v_mov_b32_e32 v17, v14
	global_store_dwordx4 v[12:13], v[42:45], off
	v_lshlrev_b64 v[12:13], 4, v[16:17]
	v_add_u32_e32 v16, 0x27d, v18
	v_mad_u64_u32 v[14:15], s[0:1], s2, v16, 0
	v_add_u32_e32 v18, 0x4fa, v18
	v_add_co_u32_e32 v12, vcc, v54, v12
	v_mad_u64_u32 v[15:16], s[0:1], s3, v16, v[15:16]
	v_mad_u64_u32 v[16:17], s[0:1], s2, v18, 0
	v_addc_co_u32_e32 v13, vcc, v55, v13, vcc
	global_store_dwordx4 v[12:13], v[8:11], off
	s_nop 0
	v_mov_b32_e32 v10, v17
	v_mad_u64_u32 v[10:11], s[0:1], s3, v18, v[10:11]
	v_lshlrev_b64 v[8:9], 4, v[14:15]
	v_add_co_u32_e32 v8, vcc, v54, v8
	v_addc_co_u32_e32 v9, vcc, v55, v9, vcc
	v_mov_b32_e32 v17, v10
	global_store_dwordx4 v[8:9], v[4:7], off
	s_nop 0
	v_lshlrev_b64 v[4:5], 4, v[16:17]
	v_add_co_u32_e32 v4, vcc, v54, v4
	v_addc_co_u32_e32 v5, vcc, v55, v5, vcc
	global_store_dwordx4 v[4:5], v[0:3], off
.LBB0_19:
	s_endpgm
	.section	.rodata,"a",@progbits
	.p2align	6, 0x0
	.amdhsa_kernel fft_rtc_back_len1911_factors_13_7_7_3_wgs_91_tpt_91_halfLds_dp_ip_CI_sbrr_dirReg
		.amdhsa_group_segment_fixed_size 0
		.amdhsa_private_segment_fixed_size 0
		.amdhsa_kernarg_size 88
		.amdhsa_user_sgpr_count 6
		.amdhsa_user_sgpr_private_segment_buffer 1
		.amdhsa_user_sgpr_dispatch_ptr 0
		.amdhsa_user_sgpr_queue_ptr 0
		.amdhsa_user_sgpr_kernarg_segment_ptr 1
		.amdhsa_user_sgpr_dispatch_id 0
		.amdhsa_user_sgpr_flat_scratch_init 0
		.amdhsa_user_sgpr_private_segment_size 0
		.amdhsa_uses_dynamic_stack 0
		.amdhsa_system_sgpr_private_segment_wavefront_offset 0
		.amdhsa_system_sgpr_workgroup_id_x 1
		.amdhsa_system_sgpr_workgroup_id_y 0
		.amdhsa_system_sgpr_workgroup_id_z 0
		.amdhsa_system_sgpr_workgroup_info 0
		.amdhsa_system_vgpr_workitem_id 0
		.amdhsa_next_free_vgpr 202
		.amdhsa_next_free_sgpr 48
		.amdhsa_reserve_vcc 1
		.amdhsa_reserve_flat_scratch 0
		.amdhsa_float_round_mode_32 0
		.amdhsa_float_round_mode_16_64 0
		.amdhsa_float_denorm_mode_32 3
		.amdhsa_float_denorm_mode_16_64 3
		.amdhsa_dx10_clamp 1
		.amdhsa_ieee_mode 1
		.amdhsa_fp16_overflow 0
		.amdhsa_exception_fp_ieee_invalid_op 0
		.amdhsa_exception_fp_denorm_src 0
		.amdhsa_exception_fp_ieee_div_zero 0
		.amdhsa_exception_fp_ieee_overflow 0
		.amdhsa_exception_fp_ieee_underflow 0
		.amdhsa_exception_fp_ieee_inexact 0
		.amdhsa_exception_int_div_zero 0
	.end_amdhsa_kernel
	.text
.Lfunc_end0:
	.size	fft_rtc_back_len1911_factors_13_7_7_3_wgs_91_tpt_91_halfLds_dp_ip_CI_sbrr_dirReg, .Lfunc_end0-fft_rtc_back_len1911_factors_13_7_7_3_wgs_91_tpt_91_halfLds_dp_ip_CI_sbrr_dirReg
                                        ; -- End function
	.section	.AMDGPU.csdata,"",@progbits
; Kernel info:
; codeLenInByte = 19808
; NumSgprs: 52
; NumVgprs: 202
; ScratchSize: 0
; MemoryBound: 1
; FloatMode: 240
; IeeeMode: 1
; LDSByteSize: 0 bytes/workgroup (compile time only)
; SGPRBlocks: 6
; VGPRBlocks: 50
; NumSGPRsForWavesPerEU: 52
; NumVGPRsForWavesPerEU: 202
; Occupancy: 1
; WaveLimiterHint : 1
; COMPUTE_PGM_RSRC2:SCRATCH_EN: 0
; COMPUTE_PGM_RSRC2:USER_SGPR: 6
; COMPUTE_PGM_RSRC2:TRAP_HANDLER: 0
; COMPUTE_PGM_RSRC2:TGID_X_EN: 1
; COMPUTE_PGM_RSRC2:TGID_Y_EN: 0
; COMPUTE_PGM_RSRC2:TGID_Z_EN: 0
; COMPUTE_PGM_RSRC2:TIDIG_COMP_CNT: 0
	.type	__hip_cuid_e4cc08d720f41c22,@object ; @__hip_cuid_e4cc08d720f41c22
	.section	.bss,"aw",@nobits
	.globl	__hip_cuid_e4cc08d720f41c22
__hip_cuid_e4cc08d720f41c22:
	.byte	0                               ; 0x0
	.size	__hip_cuid_e4cc08d720f41c22, 1

	.ident	"AMD clang version 19.0.0git (https://github.com/RadeonOpenCompute/llvm-project roc-6.4.0 25133 c7fe45cf4b819c5991fe208aaa96edf142730f1d)"
	.section	".note.GNU-stack","",@progbits
	.addrsig
	.addrsig_sym __hip_cuid_e4cc08d720f41c22
	.amdgpu_metadata
---
amdhsa.kernels:
  - .args:
      - .actual_access:  read_only
        .address_space:  global
        .offset:         0
        .size:           8
        .value_kind:     global_buffer
      - .offset:         8
        .size:           8
        .value_kind:     by_value
      - .actual_access:  read_only
        .address_space:  global
        .offset:         16
        .size:           8
        .value_kind:     global_buffer
      - .actual_access:  read_only
        .address_space:  global
        .offset:         24
        .size:           8
        .value_kind:     global_buffer
      - .offset:         32
        .size:           8
        .value_kind:     by_value
      - .actual_access:  read_only
        .address_space:  global
        .offset:         40
        .size:           8
        .value_kind:     global_buffer
      - .actual_access:  read_only
        .address_space:  global
        .offset:         48
        .size:           8
        .value_kind:     global_buffer
      - .offset:         56
        .size:           4
        .value_kind:     by_value
      - .actual_access:  read_only
        .address_space:  global
        .offset:         64
        .size:           8
        .value_kind:     global_buffer
      - .actual_access:  read_only
        .address_space:  global
        .offset:         72
        .size:           8
        .value_kind:     global_buffer
      - .address_space:  global
        .offset:         80
        .size:           8
        .value_kind:     global_buffer
    .group_segment_fixed_size: 0
    .kernarg_segment_align: 8
    .kernarg_segment_size: 88
    .language:       OpenCL C
    .language_version:
      - 2
      - 0
    .max_flat_workgroup_size: 91
    .name:           fft_rtc_back_len1911_factors_13_7_7_3_wgs_91_tpt_91_halfLds_dp_ip_CI_sbrr_dirReg
    .private_segment_fixed_size: 0
    .sgpr_count:     52
    .sgpr_spill_count: 0
    .symbol:         fft_rtc_back_len1911_factors_13_7_7_3_wgs_91_tpt_91_halfLds_dp_ip_CI_sbrr_dirReg.kd
    .uniform_work_group_size: 1
    .uses_dynamic_stack: false
    .vgpr_count:     202
    .vgpr_spill_count: 0
    .wavefront_size: 64
amdhsa.target:   amdgcn-amd-amdhsa--gfx906
amdhsa.version:
  - 1
  - 2
...

	.end_amdgpu_metadata
